;; amdgpu-corpus repo=ROCm/rocFFT kind=compiled arch=gfx906 opt=O3
	.text
	.amdgcn_target "amdgcn-amd-amdhsa--gfx906"
	.amdhsa_code_object_version 6
	.protected	fft_rtc_fwd_len3750_factors_3_5_5_10_5_wgs_125_tpt_125_halfLds_sp_ip_CI_unitstride_sbrr_C2R_dirReg ; -- Begin function fft_rtc_fwd_len3750_factors_3_5_5_10_5_wgs_125_tpt_125_halfLds_sp_ip_CI_unitstride_sbrr_C2R_dirReg
	.globl	fft_rtc_fwd_len3750_factors_3_5_5_10_5_wgs_125_tpt_125_halfLds_sp_ip_CI_unitstride_sbrr_C2R_dirReg
	.p2align	8
	.type	fft_rtc_fwd_len3750_factors_3_5_5_10_5_wgs_125_tpt_125_halfLds_sp_ip_CI_unitstride_sbrr_C2R_dirReg,@function
fft_rtc_fwd_len3750_factors_3_5_5_10_5_wgs_125_tpt_125_halfLds_sp_ip_CI_unitstride_sbrr_C2R_dirReg: ; @fft_rtc_fwd_len3750_factors_3_5_5_10_5_wgs_125_tpt_125_halfLds_sp_ip_CI_unitstride_sbrr_C2R_dirReg
; %bb.0:
	s_load_dwordx2 s[2:3], s[4:5], 0x50
	s_load_dwordx4 s[8:11], s[4:5], 0x0
	s_load_dwordx2 s[12:13], s[4:5], 0x18
	v_mul_u32_u24_e32 v1, 0x20d, v0
	v_add_u32_sdwa v5, s6, v1 dst_sel:DWORD dst_unused:UNUSED_PAD src0_sel:DWORD src1_sel:WORD_1
	v_mov_b32_e32 v3, 0
	s_waitcnt lgkmcnt(0)
	v_cmp_lt_u64_e64 s[0:1], s[10:11], 2
	v_mov_b32_e32 v1, 0
	v_mov_b32_e32 v6, v3
	s_and_b64 vcc, exec, s[0:1]
	v_mov_b32_e32 v2, 0
	s_cbranch_vccnz .LBB0_8
; %bb.1:
	s_load_dwordx2 s[0:1], s[4:5], 0x10
	s_add_u32 s6, s12, 8
	s_addc_u32 s7, s13, 0
	v_mov_b32_e32 v1, 0
	v_mov_b32_e32 v2, 0
	s_waitcnt lgkmcnt(0)
	s_add_u32 s14, s0, 8
	s_addc_u32 s15, s1, 0
	s_mov_b64 s[16:17], 1
.LBB0_2:                                ; =>This Inner Loop Header: Depth=1
	s_load_dwordx2 s[18:19], s[14:15], 0x0
                                        ; implicit-def: $vgpr7_vgpr8
	s_waitcnt lgkmcnt(0)
	v_or_b32_e32 v4, s19, v6
	v_cmp_ne_u64_e32 vcc, 0, v[3:4]
	s_and_saveexec_b64 s[0:1], vcc
	s_xor_b64 s[20:21], exec, s[0:1]
	s_cbranch_execz .LBB0_4
; %bb.3:                                ;   in Loop: Header=BB0_2 Depth=1
	v_cvt_f32_u32_e32 v4, s18
	v_cvt_f32_u32_e32 v7, s19
	s_sub_u32 s0, 0, s18
	s_subb_u32 s1, 0, s19
	v_mac_f32_e32 v4, 0x4f800000, v7
	v_rcp_f32_e32 v4, v4
	v_mul_f32_e32 v4, 0x5f7ffffc, v4
	v_mul_f32_e32 v7, 0x2f800000, v4
	v_trunc_f32_e32 v7, v7
	v_mac_f32_e32 v4, 0xcf800000, v7
	v_cvt_u32_f32_e32 v7, v7
	v_cvt_u32_f32_e32 v4, v4
	v_mul_lo_u32 v8, s0, v7
	v_mul_hi_u32 v9, s0, v4
	v_mul_lo_u32 v11, s1, v4
	v_mul_lo_u32 v10, s0, v4
	v_add_u32_e32 v8, v9, v8
	v_add_u32_e32 v8, v8, v11
	v_mul_hi_u32 v9, v4, v10
	v_mul_lo_u32 v11, v4, v8
	v_mul_hi_u32 v13, v4, v8
	v_mul_hi_u32 v12, v7, v10
	v_mul_lo_u32 v10, v7, v10
	v_mul_hi_u32 v14, v7, v8
	v_add_co_u32_e32 v9, vcc, v9, v11
	v_addc_co_u32_e32 v11, vcc, 0, v13, vcc
	v_mul_lo_u32 v8, v7, v8
	v_add_co_u32_e32 v9, vcc, v9, v10
	v_addc_co_u32_e32 v9, vcc, v11, v12, vcc
	v_addc_co_u32_e32 v10, vcc, 0, v14, vcc
	v_add_co_u32_e32 v8, vcc, v9, v8
	v_addc_co_u32_e32 v9, vcc, 0, v10, vcc
	v_add_co_u32_e32 v4, vcc, v4, v8
	v_addc_co_u32_e32 v7, vcc, v7, v9, vcc
	v_mul_lo_u32 v8, s0, v7
	v_mul_hi_u32 v9, s0, v4
	v_mul_lo_u32 v10, s1, v4
	v_mul_lo_u32 v11, s0, v4
	v_add_u32_e32 v8, v9, v8
	v_add_u32_e32 v8, v8, v10
	v_mul_lo_u32 v12, v4, v8
	v_mul_hi_u32 v13, v4, v11
	v_mul_hi_u32 v14, v4, v8
	;; [unrolled: 1-line block ×3, first 2 shown]
	v_mul_lo_u32 v11, v7, v11
	v_mul_hi_u32 v9, v7, v8
	v_add_co_u32_e32 v12, vcc, v13, v12
	v_addc_co_u32_e32 v13, vcc, 0, v14, vcc
	v_mul_lo_u32 v8, v7, v8
	v_add_co_u32_e32 v11, vcc, v12, v11
	v_addc_co_u32_e32 v10, vcc, v13, v10, vcc
	v_addc_co_u32_e32 v9, vcc, 0, v9, vcc
	v_add_co_u32_e32 v8, vcc, v10, v8
	v_addc_co_u32_e32 v9, vcc, 0, v9, vcc
	v_add_co_u32_e32 v4, vcc, v4, v8
	v_addc_co_u32_e32 v9, vcc, v7, v9, vcc
	v_mad_u64_u32 v[7:8], s[0:1], v5, v9, 0
	v_mul_hi_u32 v10, v5, v4
	v_add_co_u32_e32 v11, vcc, v10, v7
	v_addc_co_u32_e32 v12, vcc, 0, v8, vcc
	v_mad_u64_u32 v[7:8], s[0:1], v6, v4, 0
	v_mad_u64_u32 v[9:10], s[0:1], v6, v9, 0
	v_add_co_u32_e32 v4, vcc, v11, v7
	v_addc_co_u32_e32 v4, vcc, v12, v8, vcc
	v_addc_co_u32_e32 v7, vcc, 0, v10, vcc
	v_add_co_u32_e32 v4, vcc, v4, v9
	v_addc_co_u32_e32 v9, vcc, 0, v7, vcc
	v_mul_lo_u32 v10, s19, v4
	v_mul_lo_u32 v11, s18, v9
	v_mad_u64_u32 v[7:8], s[0:1], s18, v4, 0
	v_add3_u32 v8, v8, v11, v10
	v_sub_u32_e32 v10, v6, v8
	v_mov_b32_e32 v11, s19
	v_sub_co_u32_e32 v7, vcc, v5, v7
	v_subb_co_u32_e64 v10, s[0:1], v10, v11, vcc
	v_subrev_co_u32_e64 v11, s[0:1], s18, v7
	v_subbrev_co_u32_e64 v10, s[0:1], 0, v10, s[0:1]
	v_cmp_le_u32_e64 s[0:1], s19, v10
	v_cndmask_b32_e64 v12, 0, -1, s[0:1]
	v_cmp_le_u32_e64 s[0:1], s18, v11
	v_cndmask_b32_e64 v11, 0, -1, s[0:1]
	v_cmp_eq_u32_e64 s[0:1], s19, v10
	v_cndmask_b32_e64 v10, v12, v11, s[0:1]
	v_add_co_u32_e64 v11, s[0:1], 2, v4
	v_addc_co_u32_e64 v12, s[0:1], 0, v9, s[0:1]
	v_add_co_u32_e64 v13, s[0:1], 1, v4
	v_addc_co_u32_e64 v14, s[0:1], 0, v9, s[0:1]
	v_subb_co_u32_e32 v8, vcc, v6, v8, vcc
	v_cmp_ne_u32_e64 s[0:1], 0, v10
	v_cmp_le_u32_e32 vcc, s19, v8
	v_cndmask_b32_e64 v10, v14, v12, s[0:1]
	v_cndmask_b32_e64 v12, 0, -1, vcc
	v_cmp_le_u32_e32 vcc, s18, v7
	v_cndmask_b32_e64 v7, 0, -1, vcc
	v_cmp_eq_u32_e32 vcc, s19, v8
	v_cndmask_b32_e32 v7, v12, v7, vcc
	v_cmp_ne_u32_e32 vcc, 0, v7
	v_cndmask_b32_e64 v7, v13, v11, s[0:1]
	v_cndmask_b32_e32 v8, v9, v10, vcc
	v_cndmask_b32_e32 v7, v4, v7, vcc
.LBB0_4:                                ;   in Loop: Header=BB0_2 Depth=1
	s_andn2_saveexec_b64 s[0:1], s[20:21]
	s_cbranch_execz .LBB0_6
; %bb.5:                                ;   in Loop: Header=BB0_2 Depth=1
	v_cvt_f32_u32_e32 v4, s18
	s_sub_i32 s20, 0, s18
	v_rcp_iflag_f32_e32 v4, v4
	v_mul_f32_e32 v4, 0x4f7ffffe, v4
	v_cvt_u32_f32_e32 v4, v4
	v_mul_lo_u32 v7, s20, v4
	v_mul_hi_u32 v7, v4, v7
	v_add_u32_e32 v4, v4, v7
	v_mul_hi_u32 v4, v5, v4
	v_mul_lo_u32 v7, v4, s18
	v_add_u32_e32 v8, 1, v4
	v_sub_u32_e32 v7, v5, v7
	v_subrev_u32_e32 v9, s18, v7
	v_cmp_le_u32_e32 vcc, s18, v7
	v_cndmask_b32_e32 v7, v7, v9, vcc
	v_cndmask_b32_e32 v4, v4, v8, vcc
	v_add_u32_e32 v8, 1, v4
	v_cmp_le_u32_e32 vcc, s18, v7
	v_cndmask_b32_e32 v7, v4, v8, vcc
	v_mov_b32_e32 v8, v3
.LBB0_6:                                ;   in Loop: Header=BB0_2 Depth=1
	s_or_b64 exec, exec, s[0:1]
	v_mul_lo_u32 v4, v8, s18
	v_mul_lo_u32 v11, v7, s19
	v_mad_u64_u32 v[9:10], s[0:1], v7, s18, 0
	s_load_dwordx2 s[0:1], s[6:7], 0x0
	s_add_u32 s16, s16, 1
	v_add3_u32 v4, v10, v11, v4
	v_sub_co_u32_e32 v5, vcc, v5, v9
	v_subb_co_u32_e32 v4, vcc, v6, v4, vcc
	s_waitcnt lgkmcnt(0)
	v_mul_lo_u32 v4, s0, v4
	v_mul_lo_u32 v6, s1, v5
	v_mad_u64_u32 v[1:2], s[0:1], s0, v5, v[1:2]
	s_addc_u32 s17, s17, 0
	s_add_u32 s6, s6, 8
	v_add3_u32 v2, v6, v2, v4
	v_mov_b32_e32 v4, s10
	v_mov_b32_e32 v5, s11
	s_addc_u32 s7, s7, 0
	v_cmp_ge_u64_e32 vcc, s[16:17], v[4:5]
	s_add_u32 s14, s14, 8
	s_addc_u32 s15, s15, 0
	s_cbranch_vccnz .LBB0_9
; %bb.7:                                ;   in Loop: Header=BB0_2 Depth=1
	v_mov_b32_e32 v5, v7
	v_mov_b32_e32 v6, v8
	s_branch .LBB0_2
.LBB0_8:
	v_mov_b32_e32 v8, v6
	v_mov_b32_e32 v7, v5
.LBB0_9:
	s_lshl_b64 s[0:1], s[10:11], 3
	s_add_u32 s0, s12, s0
	s_addc_u32 s1, s13, s1
	s_load_dwordx2 s[6:7], s[0:1], 0x0
	s_load_dwordx2 s[10:11], s[4:5], 0x20
	s_waitcnt lgkmcnt(0)
	v_mad_u64_u32 v[1:2], s[0:1], s6, v7, v[1:2]
	v_mul_lo_u32 v3, s6, v8
	v_mul_lo_u32 v4, s7, v7
	s_mov_b32 s0, 0x20c49bb
	v_mul_hi_u32 v5, v0, s0
	v_cmp_gt_u64_e64 s[0:1], s[10:11], v[7:8]
	v_add3_u32 v2, v4, v2, v3
	v_lshlrev_b64 v[10:11], 3, v[1:2]
	v_mul_u32_u24_e32 v3, 0x7d, v5
	v_sub_u32_e32 v8, v0, v3
	s_and_saveexec_b64 s[4:5], s[0:1]
	s_cbranch_execz .LBB0_13
; %bb.10:
	v_mov_b32_e32 v9, 0
	v_mov_b32_e32 v0, s3
	v_add_co_u32_e32 v1, vcc, s2, v10
	v_lshlrev_b64 v[2:3], 3, v[8:9]
	v_addc_co_u32_e32 v0, vcc, v0, v11, vcc
	v_add_co_u32_e32 v2, vcc, v1, v2
	v_addc_co_u32_e32 v3, vcc, v0, v3, vcc
	s_movk_i32 s6, 0x1000
	v_add_co_u32_e32 v6, vcc, s6, v2
	v_addc_co_u32_e32 v7, vcc, 0, v3, vcc
	s_movk_i32 s6, 0x2000
	;; [unrolled: 3-line block ×3, first 2 shown]
	global_load_dwordx2 v[4:5], v[2:3], off offset:3000
	global_load_dwordx2 v[12:13], v[2:3], off offset:4000
	;; [unrolled: 1-line block ×9, first 2 shown]
	v_add_co_u32_e32 v6, vcc, s6, v2
	v_addc_co_u32_e32 v7, vcc, 0, v3, vcc
	s_movk_i32 s6, 0x4000
	global_load_dwordx2 v[30:31], v[2:3], off
	global_load_dwordx2 v[32:33], v[2:3], off offset:2000
	global_load_dwordx2 v[34:35], v[2:3], off offset:1000
	;; [unrolled: 1-line block ×6, first 2 shown]
	v_add_co_u32_e32 v20, vcc, s6, v2
	v_addc_co_u32_e32 v21, vcc, 0, v3, vcc
	s_movk_i32 s6, 0x5000
	global_load_dwordx2 v[44:45], v[6:7], off offset:3712
	global_load_dwordx2 v[46:47], v[20:21], off offset:616
	;; [unrolled: 1-line block ×4, first 2 shown]
	v_add_co_u32_e32 v6, vcc, s6, v2
	s_movk_i32 s7, 0x6000
	v_addc_co_u32_e32 v7, vcc, 0, v3, vcc
	v_add_co_u32_e32 v52, vcc, s7, v2
	global_load_dwordx2 v[54:55], v[20:21], off offset:3616
	global_load_dwordx2 v[56:57], v[6:7], off offset:520
	;; [unrolled: 1-line block ×4, first 2 shown]
	v_addc_co_u32_e32 v53, vcc, 0, v3, vcc
	v_add_co_u32_e32 v2, vcc, 0x7000, v2
	v_addc_co_u32_e32 v3, vcc, 0, v3, vcc
	global_load_dwordx2 v[20:21], v[6:7], off offset:3520
	global_load_dwordx2 v[62:63], v[52:53], off offset:424
	;; [unrolled: 1-line block ×6, first 2 shown]
	v_lshl_add_u32 v2, v8, 3, 0
	v_add_u32_e32 v3, 0x400, v2
	v_add_u32_e32 v6, 0xc00, v2
	;; [unrolled: 1-line block ×4, first 2 shown]
	s_movk_i32 s6, 0x7c
	v_cmp_eq_u32_e32 vcc, s6, v8
	s_waitcnt vmcnt(19)
	ds_write2_b64 v3, v[32:33], v[4:5] offset0:122 offset1:247
	ds_write2_b64 v6, v[12:13], v[14:15] offset0:116 offset1:241
	;; [unrolled: 1-line block ×4, first 2 shown]
	v_add_u32_e32 v3, 0x2400, v2
	ds_write2_b64 v3, v[26:27], v[28:29] offset0:98 offset1:223
	v_add_u32_e32 v3, 0x2c00, v2
	s_waitcnt vmcnt(16)
	ds_write2_b64 v3, v[36:37], v[38:39] offset0:92 offset1:217
	v_add_u32_e32 v3, 0x3400, v2
	ds_write2_b64 v2, v[30:31], v[34:35] offset1:125
	v_add_u32_e32 v4, 0x3c00, v2
	v_add_u32_e32 v5, 0x4400, v2
	s_waitcnt vmcnt(14)
	ds_write2_b64 v3, v[40:41], v[42:43] offset0:86 offset1:211
	s_waitcnt vmcnt(12)
	ds_write2_b64 v4, v[44:45], v[46:47] offset0:80 offset1:205
	;; [unrolled: 2-line block ×3, first 2 shown]
	v_add_u32_e32 v3, 0x4c00, v2
	s_waitcnt vmcnt(8)
	ds_write2_b64 v3, v[54:55], v[56:57] offset0:68 offset1:193
	v_add_u32_e32 v3, 0x5400, v2
	s_waitcnt vmcnt(6)
	ds_write2_b64 v3, v[58:59], v[60:61] offset0:62 offset1:187
	;; [unrolled: 3-line block ×3, first 2 shown]
	v_add_u32_e32 v3, 0x6400, v2
	v_add_u32_e32 v2, 0x6c00, v2
	s_waitcnt vmcnt(2)
	ds_write2_b64 v3, v[64:65], v[66:67] offset0:50 offset1:175
	s_waitcnt vmcnt(0)
	ds_write2_b64 v2, v[68:69], v[70:71] offset0:44 offset1:169
	s_and_saveexec_b64 s[6:7], vcc
	s_cbranch_execz .LBB0_12
; %bb.11:
	v_add_co_u32_e32 v1, vcc, 0x7000, v1
	v_addc_co_u32_e32 v2, vcc, 0, v0, vcc
	global_load_dwordx2 v[0:1], v[1:2], off offset:1328
	v_mov_b32_e32 v8, 0x7c
	s_waitcnt vmcnt(0)
	ds_write_b64 v9, v[0:1] offset:30000
.LBB0_12:
	s_or_b64 exec, exec, s[6:7]
.LBB0_13:
	s_or_b64 exec, exec, s[4:5]
	v_lshlrev_b32_e32 v0, 3, v8
	v_add_u32_e32 v16, 0, v0
	s_waitcnt lgkmcnt(0)
	s_barrier
	v_sub_u32_e32 v4, 0, v0
	ds_read_b32 v5, v16
	ds_read_b32 v6, v4 offset:30000
	s_add_u32 s6, s8, 0x7518
	s_addc_u32 s7, s9, 0
	v_cmp_ne_u32_e32 vcc, 0, v8
                                        ; implicit-def: $vgpr2_vgpr3
	s_waitcnt lgkmcnt(0)
	v_add_f32_e32 v0, v6, v5
	v_sub_f32_e32 v1, v5, v6
	s_and_saveexec_b64 s[4:5], vcc
	s_xor_b64 s[4:5], exec, s[4:5]
	s_cbranch_execz .LBB0_15
; %bb.14:
	v_mov_b32_e32 v9, 0
	v_lshlrev_b64 v[0:1], 3, v[8:9]
	v_mov_b32_e32 v2, s7
	v_add_co_u32_e32 v0, vcc, s6, v0
	v_addc_co_u32_e32 v1, vcc, v2, v1, vcc
	global_load_dwordx2 v[2:3], v[0:1], off
	ds_read_b32 v0, v4 offset:30004
	ds_read_b32 v1, v16 offset:4
	v_add_f32_e32 v7, v6, v5
	v_sub_f32_e32 v12, v5, v6
	s_waitcnt lgkmcnt(0)
	v_add_f32_e32 v13, v0, v1
	v_sub_f32_e32 v0, v1, v0
	s_waitcnt vmcnt(0)
	v_fma_f32 v14, v12, v3, v7
	v_fma_f32 v1, v13, v3, v0
	v_fma_f32 v5, -v12, v3, v7
	v_fma_f32 v6, v13, v3, -v0
	v_fma_f32 v0, -v2, v13, v14
	v_fmac_f32_e32 v1, v12, v2
	v_fmac_f32_e32 v5, v2, v13
	;; [unrolled: 1-line block ×3, first 2 shown]
	v_mov_b32_e32 v2, v8
	ds_write_b64 v4, v[5:6] offset:30000
	v_mov_b32_e32 v3, v9
.LBB0_15:
	s_andn2_saveexec_b64 s[4:5], s[4:5]
	s_cbranch_execz .LBB0_17
; %bb.16:
	v_mov_b32_e32 v7, 0
	ds_read_b64 v[2:3], v7 offset:15000
	s_waitcnt lgkmcnt(0)
	v_add_f32_e32 v5, v2, v2
	v_mul_f32_e32 v6, -2.0, v3
	v_mov_b32_e32 v2, 0
	v_mov_b32_e32 v3, 0
	ds_write_b64 v7, v[5:6] offset:15000
.LBB0_17:
	s_or_b64 exec, exec, s[4:5]
	v_lshlrev_b64 v[2:3], 3, v[2:3]
	v_mov_b32_e32 v5, s7
	v_add_co_u32_e32 v2, vcc, s6, v2
	v_addc_co_u32_e32 v3, vcc, v5, v3, vcc
	global_load_dwordx2 v[5:6], v[2:3], off offset:1000
	global_load_dwordx2 v[12:13], v[2:3], off offset:2000
	;; [unrolled: 1-line block ×4, first 2 shown]
	s_movk_i32 s4, 0x1000
	v_add_co_u32_e32 v21, vcc, s4, v2
	ds_write_b64 v16, v[0:1]
	v_addc_co_u32_e32 v22, vcc, 0, v3, vcc
	ds_read_b64 v[0:1], v16 offset:1000
	ds_read_b64 v[19:20], v4 offset:29000
	global_load_dwordx2 v[23:24], v[21:22], off offset:904
	s_movk_i32 s5, 0x2000
	v_mad_u32_u24 v86, v8, 24, 0
	v_add_u32_e32 v87, 0xbb8, v86
	s_waitcnt lgkmcnt(0)
	v_add_f32_e32 v7, v0, v19
	v_add_f32_e32 v9, v20, v1
	v_sub_f32_e32 v25, v0, v19
	v_sub_f32_e32 v0, v1, v20
	s_mov_b32 s6, 0x3f167918
	s_movk_i32 s7, 0x4a
	s_waitcnt vmcnt(4)
	v_fma_f32 v26, v25, v6, v7
	v_fma_f32 v1, v9, v6, v0
	v_fma_f32 v19, -v25, v6, v7
	v_fma_f32 v20, v9, v6, -v0
	v_fma_f32 v0, -v5, v9, v26
	v_fmac_f32_e32 v1, v25, v5
	v_fmac_f32_e32 v19, v5, v9
	v_fmac_f32_e32 v20, v25, v5
	ds_write_b64 v16, v[0:1] offset:1000
	ds_write_b64 v4, v[19:20] offset:29000
	ds_read_b64 v[0:1], v16 offset:2000
	ds_read_b64 v[5:6], v4 offset:28000
	global_load_dwordx2 v[19:20], v[21:22], off offset:1904
	s_waitcnt lgkmcnt(0)
	v_add_f32_e32 v7, v0, v5
	v_add_f32_e32 v9, v6, v1
	v_sub_f32_e32 v25, v0, v5
	v_sub_f32_e32 v0, v1, v6
	s_waitcnt vmcnt(4)
	v_fma_f32 v26, v25, v13, v7
	v_fma_f32 v1, v9, v13, v0
	v_fma_f32 v5, -v25, v13, v7
	v_fma_f32 v6, v9, v13, -v0
	v_fma_f32 v0, -v12, v9, v26
	v_fmac_f32_e32 v1, v25, v12
	v_fmac_f32_e32 v5, v12, v9
	v_fmac_f32_e32 v6, v25, v12
	ds_write_b64 v16, v[0:1] offset:2000
	ds_write_b64 v4, v[5:6] offset:28000
	ds_read_b64 v[0:1], v16 offset:3000
	ds_read_b64 v[5:6], v4 offset:27000
	global_load_dwordx2 v[12:13], v[21:22], off offset:2904
	s_waitcnt lgkmcnt(0)
	v_add_f32_e32 v7, v0, v5
	v_add_f32_e32 v9, v6, v1
	v_sub_f32_e32 v25, v0, v5
	v_sub_f32_e32 v0, v1, v6
	;; [unrolled: 19-line block ×3, first 2 shown]
	s_waitcnt vmcnt(4)
	v_fma_f32 v22, v21, v18, v7
	v_fma_f32 v1, v9, v18, v0
	v_fma_f32 v5, -v21, v18, v7
	v_fma_f32 v6, v9, v18, -v0
	v_fma_f32 v0, -v17, v9, v22
	v_fmac_f32_e32 v1, v21, v17
	v_fmac_f32_e32 v5, v17, v9
	;; [unrolled: 1-line block ×3, first 2 shown]
	v_add_co_u32_e32 v17, vcc, s5, v2
	ds_write_b64 v16, v[0:1] offset:4000
	ds_write_b64 v4, v[5:6] offset:26000
	v_addc_co_u32_e32 v18, vcc, 0, v3, vcc
	ds_read_b64 v[0:1], v16 offset:5000
	ds_read_b64 v[5:6], v4 offset:25000
	global_load_dwordx2 v[21:22], v[17:18], off offset:808
	s_movk_i32 s5, 0x3000
	v_add_co_u32_e32 v2, vcc, s5, v2
	s_waitcnt lgkmcnt(0)
	v_add_f32_e32 v7, v0, v5
	v_add_f32_e32 v9, v6, v1
	v_sub_f32_e32 v25, v0, v5
	v_sub_f32_e32 v0, v1, v6
	s_waitcnt vmcnt(4)
	v_fma_f32 v26, v25, v24, v7
	v_fma_f32 v1, v9, v24, v0
	v_fma_f32 v5, -v25, v24, v7
	v_fma_f32 v6, v9, v24, -v0
	v_fma_f32 v0, -v23, v9, v26
	v_fmac_f32_e32 v1, v25, v23
	v_fmac_f32_e32 v5, v23, v9
	;; [unrolled: 1-line block ×3, first 2 shown]
	ds_write_b64 v16, v[0:1] offset:5000
	ds_write_b64 v4, v[5:6] offset:25000
	ds_read_b64 v[0:1], v16 offset:6000
	ds_read_b64 v[5:6], v4 offset:24000
	global_load_dwordx2 v[23:24], v[17:18], off offset:1808
	v_addc_co_u32_e32 v3, vcc, 0, v3, vcc
	s_movk_i32 s5, 0xab
	s_waitcnt lgkmcnt(0)
	v_add_f32_e32 v7, v0, v5
	v_add_f32_e32 v9, v6, v1
	v_sub_f32_e32 v25, v0, v5
	v_sub_f32_e32 v0, v1, v6
	s_waitcnt vmcnt(4)
	v_fma_f32 v26, v25, v20, v7
	v_fma_f32 v1, v9, v20, v0
	v_fma_f32 v5, -v25, v20, v7
	v_fma_f32 v6, v9, v20, -v0
	v_fma_f32 v0, -v19, v9, v26
	v_fmac_f32_e32 v1, v25, v19
	v_fmac_f32_e32 v5, v19, v9
	;; [unrolled: 1-line block ×3, first 2 shown]
	ds_write_b64 v16, v[0:1] offset:6000
	ds_write_b64 v4, v[5:6] offset:24000
	ds_read_b64 v[0:1], v16 offset:7000
	ds_read_b64 v[5:6], v4 offset:23000
	global_load_dwordx2 v[19:20], v[17:18], off offset:2808
	s_waitcnt lgkmcnt(0)
	v_add_f32_e32 v7, v0, v5
	v_add_f32_e32 v9, v6, v1
	v_sub_f32_e32 v25, v0, v5
	v_sub_f32_e32 v0, v1, v6
	s_waitcnt vmcnt(4)
	v_fma_f32 v26, v25, v13, v7
	v_fma_f32 v1, v9, v13, v0
	v_fma_f32 v5, -v25, v13, v7
	v_fma_f32 v6, v9, v13, -v0
	v_fma_f32 v0, -v12, v9, v26
	v_fmac_f32_e32 v1, v25, v12
	v_fmac_f32_e32 v5, v12, v9
	v_fmac_f32_e32 v6, v25, v12
	ds_write_b64 v16, v[0:1] offset:7000
	ds_write_b64 v4, v[5:6] offset:23000
	ds_read_b64 v[0:1], v16 offset:8000
	ds_read_b64 v[5:6], v4 offset:22000
	v_add_u32_e32 v26, 0x2c00, v16
	v_add_u32_e32 v25, 0x1c00, v16
	s_waitcnt lgkmcnt(0)
	v_add_f32_e32 v7, v0, v5
	v_add_f32_e32 v9, v6, v1
	v_sub_f32_e32 v12, v0, v5
	v_sub_f32_e32 v5, v1, v6
	s_waitcnt vmcnt(3)
	v_fma_f32 v0, v12, v15, v7
	v_fma_f32 v1, v9, v15, v5
	v_fma_f32 v0, -v14, v9, v0
	v_fmac_f32_e32 v1, v12, v14
	ds_write_b64 v16, v[0:1] offset:8000
	v_fma_f32 v1, v9, v15, -v5
	global_load_dwordx2 v[5:6], v[17:18], off offset:3808
	v_fma_f32 v0, -v12, v15, v7
	v_fmac_f32_e32 v0, v14, v9
	v_fmac_f32_e32 v1, v12, v14
	ds_write_b64 v4, v[0:1] offset:22000
	ds_read_b64 v[0:1], v16 offset:9000
	ds_read_b64 v[12:13], v4 offset:21000
	s_waitcnt lgkmcnt(0)
	v_add_f32_e32 v7, v0, v12
	v_add_f32_e32 v9, v13, v1
	v_sub_f32_e32 v14, v0, v12
	v_sub_f32_e32 v15, v1, v13
	global_load_dwordx2 v[12:13], v[2:3], off offset:712
	s_waitcnt vmcnt(4)
	v_fma_f32 v0, v14, v22, v7
	v_fma_f32 v1, v9, v22, v15
	v_fma_f32 v0, -v21, v9, v0
	v_fmac_f32_e32 v1, v14, v21
	ds_write_b64 v16, v[0:1] offset:9000
	v_fma_f32 v0, -v14, v22, v7
	v_fma_f32 v1, v9, v22, -v15
	v_fmac_f32_e32 v0, v21, v9
	v_fmac_f32_e32 v1, v14, v21
	ds_write_b64 v4, v[0:1] offset:21000
	ds_read_b64 v[0:1], v16 offset:10000
	ds_read_b64 v[14:15], v4 offset:20000
	v_add_u32_e32 v22, 0x400, v16
	s_waitcnt lgkmcnt(0)
	v_add_f32_e32 v7, v0, v14
	v_add_f32_e32 v9, v15, v1
	v_sub_f32_e32 v14, v0, v14
	v_sub_f32_e32 v15, v1, v15
	global_load_dwordx2 v[0:1], v[2:3], off offset:1712
	s_waitcnt vmcnt(4)
	v_fma_f32 v17, v14, v24, v7
	v_fma_f32 v3, v9, v24, v15
	v_fma_f32 v2, -v23, v9, v17
	v_fmac_f32_e32 v3, v14, v23
	ds_write_b64 v16, v[2:3] offset:10000
	v_fma_f32 v2, -v14, v24, v7
	v_fma_f32 v3, v9, v24, -v15
	v_fmac_f32_e32 v2, v23, v9
	v_fmac_f32_e32 v3, v14, v23
	ds_write_b64 v4, v[2:3] offset:20000
	ds_read_b64 v[2:3], v16 offset:11000
	ds_read_b64 v[14:15], v4 offset:19000
	s_waitcnt lgkmcnt(0)
	v_add_f32_e32 v7, v2, v14
	v_add_f32_e32 v9, v15, v3
	v_sub_f32_e32 v14, v2, v14
	v_sub_f32_e32 v15, v3, v15
	s_waitcnt vmcnt(3)
	v_fma_f32 v2, v14, v20, v7
	v_fma_f32 v3, v9, v20, v15
	v_fma_f32 v2, -v19, v9, v2
	v_fmac_f32_e32 v3, v14, v19
	ds_write_b64 v16, v[2:3] offset:11000
	v_fma_f32 v2, -v14, v20, v7
	v_fma_f32 v3, v9, v20, -v15
	v_fmac_f32_e32 v2, v19, v9
	v_fmac_f32_e32 v3, v14, v19
	ds_write_b64 v4, v[2:3] offset:19000
	ds_read_b64 v[2:3], v16 offset:12000
	ds_read_b64 v[14:15], v4 offset:18000
	v_add_u32_e32 v20, 0x4c00, v16
	s_waitcnt lgkmcnt(0)
	v_add_f32_e32 v7, v2, v14
	v_add_f32_e32 v9, v15, v3
	v_sub_f32_e32 v14, v2, v14
	v_sub_f32_e32 v15, v3, v15
	s_waitcnt vmcnt(2)
	v_fma_f32 v2, v14, v6, v7
	v_fma_f32 v3, v9, v6, v15
	v_fma_f32 v2, -v5, v9, v2
	v_fmac_f32_e32 v3, v14, v5
	ds_write_b64 v16, v[2:3] offset:12000
	v_fma_f32 v2, -v14, v6, v7
	v_fma_f32 v3, v9, v6, -v15
	v_fmac_f32_e32 v2, v5, v9
	v_fmac_f32_e32 v3, v14, v5
	ds_write_b64 v4, v[2:3] offset:18000
	ds_read_b64 v[2:3], v16 offset:13000
	ds_read_b64 v[5:6], v4 offset:17000
	s_waitcnt lgkmcnt(0)
	v_add_f32_e32 v7, v2, v5
	v_add_f32_e32 v9, v6, v3
	v_sub_f32_e32 v5, v2, v5
	v_sub_f32_e32 v6, v3, v6
	s_waitcnt vmcnt(1)
	v_fma_f32 v2, v5, v13, v7
	v_fma_f32 v3, v9, v13, v6
	v_fma_f32 v2, -v12, v9, v2
	v_fmac_f32_e32 v3, v5, v12
	ds_write_b64 v16, v[2:3] offset:13000
	v_fma_f32 v2, -v5, v13, v7
	v_fma_f32 v3, v9, v13, -v6
	v_fmac_f32_e32 v2, v12, v9
	v_fmac_f32_e32 v3, v5, v12
	ds_write_b64 v4, v[2:3] offset:17000
	ds_read_b64 v[2:3], v16 offset:14000
	ds_read_b64 v[5:6], v4 offset:16000
	s_waitcnt lgkmcnt(0)
	v_add_f32_e32 v7, v2, v5
	v_add_f32_e32 v9, v6, v3
	v_sub_f32_e32 v5, v2, v5
	v_sub_f32_e32 v6, v3, v6
	s_waitcnt vmcnt(0)
	v_fma_f32 v2, v5, v1, v7
	v_fma_f32 v3, v9, v1, v6
	v_fma_f32 v2, -v0, v9, v2
	v_fmac_f32_e32 v3, v5, v0
	ds_write_b64 v16, v[2:3] offset:14000
	v_fma_f32 v2, -v5, v1, v7
	v_fma_f32 v3, v9, v1, -v6
	v_fmac_f32_e32 v2, v0, v9
	v_fmac_f32_e32 v3, v5, v0
	v_add_u32_e32 v9, 0x2400, v16
	ds_write_b64 v4, v[2:3] offset:16000
	s_waitcnt lgkmcnt(0)
	s_barrier
	s_barrier
	ds_read2_b64 v[0:3], v16 offset1:125
	ds_read2_b64 v[4:7], v9 offset0:98 offset1:223
	ds_read2_b64 v[12:15], v20 offset0:68 offset1:193
	s_waitcnt lgkmcnt(1)
	v_add_f32_e32 v17, v0, v4
	s_waitcnt lgkmcnt(0)
	v_add_f32_e32 v72, v4, v12
	v_sub_f32_e32 v73, v5, v13
	v_add_f32_e32 v18, v1, v5
	v_add_f32_e32 v74, v5, v13
	v_sub_f32_e32 v75, v4, v12
	v_add_f32_e32 v19, v2, v6
	;; [unrolled: 3-line block ×4, first 2 shown]
	ds_read2_b64 v[4:7], v22 offset0:122 offset1:247
	v_add_u32_e32 v17, 0x5400, v16
	ds_read2_b64 v[27:30], v26 offset0:92 offset1:217
	ds_read2_b64 v[31:34], v17 offset0:62 offset1:187
	v_fma_f32 v2, -0.5, v21, v2
	v_fmac_f32_e32 v3, -0.5, v24
	v_mov_b32_e32 v70, v2
	v_mov_b32_e32 v71, v3
	s_waitcnt lgkmcnt(0)
	v_add_f32_e32 v78, v27, v31
	v_add_f32_e32 v80, v28, v32
	;; [unrolled: 1-line block ×9, first 2 shown]
	v_fmac_f32_e32 v70, 0x3f5db3d7, v76
	v_fmac_f32_e32 v71, 0xbf5db3d7, v77
	v_add_u32_e32 v21, 0xc00, v16
	v_fma_f32 v4, -0.5, v78, v4
	v_fma_f32 v5, -0.5, v80, v5
	v_sub_f32_e32 v79, v28, v32
	v_sub_f32_e32 v81, v27, v31
	v_add_f32_e32 v82, v29, v33
	v_sub_f32_e32 v83, v30, v34
	v_add_f32_e32 v84, v30, v34
	v_sub_f32_e32 v85, v29, v33
	v_add_f32_e32 v66, v12, v31
	v_add_f32_e32 v67, v13, v32
	v_add_f32_e32 v68, v14, v33
	;; [unrolled: 1-line block ×3, first 2 shown]
	v_add_u32_e32 v24, 0x3400, v16
	v_add_u32_e32 v27, 0x5c00, v16
	;; [unrolled: 1-line block ×7, first 2 shown]
	ds_read2_b64 v[12:15], v21 offset0:116 offset1:241
	ds_read2_b64 v[30:33], v24 offset0:86 offset1:211
	;; [unrolled: 1-line block ×9, first 2 shown]
	s_waitcnt lgkmcnt(0)
	s_barrier
	ds_write2_b64 v87, v[64:65], v[70:71] offset1:1
	v_mov_b32_e32 v64, v4
	v_mov_b32_e32 v65, v5
	v_fmac_f32_e32 v64, 0x3f5db3d7, v79
	v_fmac_f32_e32 v65, 0xbf5db3d7, v81
	v_add_u32_e32 v70, 0x1770, v86
	v_fma_f32 v6, -0.5, v82, v6
	v_fmac_f32_e32 v7, -0.5, v84
	ds_write2_b64 v70, v[66:67], v[64:65] offset1:1
	v_mov_b32_e32 v64, v6
	v_mov_b32_e32 v65, v7
	v_fmac_f32_e32 v64, 0x3f5db3d7, v83
	v_fmac_f32_e32 v65, 0xbf5db3d7, v85
	v_add_u32_e32 v66, 0x2328, v86
	ds_write2_b64 v66, v[68:69], v[64:65] offset1:1
	v_add_f32_e32 v66, v30, v34
	v_add_f32_e32 v64, v12, v30
	v_fma_f32 v12, -0.5, v66, v12
	v_add_f32_e32 v66, v31, v35
	v_add_f32_e32 v65, v13, v31
	v_fma_f32 v13, -0.5, v66, v13
	v_add_f32_e32 v64, v64, v34
	v_add_f32_e32 v65, v65, v35
	v_sub_f32_e32 v35, v31, v35
	v_mov_b32_e32 v66, v12
	v_mov_b32_e32 v67, v13
	v_sub_f32_e32 v34, v30, v34
	v_fmac_f32_e32 v66, 0x3f5db3d7, v35
	v_fmac_f32_e32 v67, 0xbf5db3d7, v34
	v_add_u32_e32 v30, 0x2ee0, v86
	ds_write2_b64 v30, v[64:65], v[66:67] offset1:1
	v_add_f32_e32 v30, v14, v32
	v_add_f32_e32 v64, v32, v36
	v_sub_f32_e32 v65, v33, v37
	v_add_f32_e32 v31, v15, v33
	v_add_f32_e32 v66, v33, v37
	v_sub_f32_e32 v67, v32, v36
	v_add_f32_e32 v32, v38, v42
	v_add_f32_e32 v33, v39, v43
	v_fma_f32 v0, -0.5, v72, v0
	v_fma_f32 v1, -0.5, v74, v1
	v_fmac_f32_e32 v2, 0xbf5db3d7, v76
	v_fmac_f32_e32 v3, 0x3f5db3d7, v77
	v_add_f32_e32 v68, v42, v46
	v_sub_f32_e32 v69, v43, v47
	v_add_f32_e32 v43, v43, v47
	v_sub_f32_e32 v42, v42, v46
	v_add_f32_e32 v46, v32, v46
	v_add_f32_e32 v47, v33, v47
	v_mov_b32_e32 v32, v0
	v_mov_b32_e32 v33, v1
	ds_write_b64 v86, v[2:3] offset:3016
	v_fma_f32 v2, -0.5, v64, v14
	v_fmac_f32_e32 v0, 0xbf5db3d7, v73
	v_fmac_f32_e32 v1, 0x3f5db3d7, v75
	v_fmac_f32_e32 v15, -0.5, v66
	ds_write_b64 v86, v[0:1] offset:16
	v_mov_b32_e32 v0, v2
	v_add_f32_e32 v37, v31, v37
	v_fmac_f32_e32 v32, 0x3f5db3d7, v73
	v_fmac_f32_e32 v33, 0xbf5db3d7, v75
	;; [unrolled: 1-line block ×4, first 2 shown]
	v_mov_b32_e32 v3, v15
	v_fmac_f32_e32 v15, 0x3f5db3d7, v67
	v_fmac_f32_e32 v4, 0xbf5db3d7, v79
	;; [unrolled: 1-line block ×6, first 2 shown]
	v_add_u32_e32 v1, 0x3a9c, v86
	v_add_f32_e32 v36, v30, v36
	ds_write2_b64 v86, v[62:63], v[32:33] offset1:1
	ds_write_b64 v86, v[6:7] offset:9016
	ds_write_b32 v86, v15 offset:15020
	ds_write_b64 v86, v[4:5] offset:6016
	ds_write_b64 v86, v[12:13] offset:12016
	ds_write_b32 v86, v36 offset:15000
	ds_write2_b32 v1, v37, v0 offset1:1
	v_fmac_f32_e32 v2, 0xbf5db3d7, v65
	v_fmac_f32_e32 v3, 0xbf5db3d7, v67
	v_add_u32_e32 v0, 0x3aa4, v86
	ds_write2_b32 v0, v3, v2 offset1:1
	ds_write_b32 v86, v46 offset:18000
	v_fma_f32 v0, -0.5, v68, v38
	v_mov_b32_e32 v1, v0
	v_fmac_f32_e32 v1, 0x3f5db3d7, v69
	v_add_u32_e32 v2, 0x4654, v86
	ds_write2_b32 v2, v47, v1 offset1:1
	v_fma_f32 v1, -0.5, v43, v39
	v_add_f32_e32 v70, v44, v48
	v_sub_f32_e32 v71, v45, v49
	v_add_f32_e32 v31, v41, v45
	v_add_f32_e32 v45, v45, v49
	v_mov_b32_e32 v2, v1
	v_add_f32_e32 v30, v40, v44
	v_fmac_f32_e32 v0, 0xbf5db3d7, v69
	v_fmac_f32_e32 v2, 0xbf5db3d7, v42
	v_add_u32_e32 v3, 0x465c, v86
	v_fmac_f32_e32 v1, 0x3f5db3d7, v42
	v_fma_f32 v40, -0.5, v70, v40
	v_fmac_f32_e32 v41, -0.5, v45
	v_sub_f32_e32 v44, v44, v48
	ds_write2_b32 v3, v2, v0 offset1:1
	ds_write_b32 v86, v1 offset:18020
	v_mov_b32_e32 v0, v40
	v_mov_b32_e32 v1, v41
	v_add_f32_e32 v30, v30, v48
	v_add_f32_e32 v31, v31, v49
	v_fmac_f32_e32 v0, 0x3f5db3d7, v71
	v_fmac_f32_e32 v1, 0xbf5db3d7, v44
	v_add_u32_e32 v2, 0x5208, v86
	ds_write2_b64 v2, v[30:31], v[0:1] offset1:1
	v_add_f32_e32 v2, v54, v58
	v_add_f32_e32 v3, v55, v59
	v_fma_f32 v2, -0.5, v2, v50
	v_fma_f32 v3, -0.5, v3, v51
	v_add_f32_e32 v0, v50, v54
	v_add_f32_e32 v1, v51, v55
	v_sub_f32_e32 v6, v55, v59
	v_mov_b32_e32 v4, v2
	v_mov_b32_e32 v5, v3
	v_sub_f32_e32 v7, v54, v58
	v_add_f32_e32 v0, v0, v58
	v_add_f32_e32 v1, v1, v59
	v_fmac_f32_e32 v4, 0x3f5db3d7, v6
	v_fmac_f32_e32 v5, 0xbf5db3d7, v7
	v_add_u32_e32 v12, 0x5dc0, v86
	ds_write2_b64 v12, v[0:1], v[4:5] offset1:1
	v_add_f32_e32 v1, v56, v60
	v_add_f32_e32 v0, v52, v56
	;; [unrolled: 1-line block ×3, first 2 shown]
	v_fmac_f32_e32 v2, 0xbf5db3d7, v6
	v_fmac_f32_e32 v3, 0x3f5db3d7, v7
	v_fma_f32 v1, -0.5, v1, v52
	v_sub_f32_e32 v4, v57, v61
	v_add_f32_e32 v5, v53, v57
	v_add_f32_e32 v0, v0, v60
	ds_write_b64 v86, v[2:3] offset:24016
	v_mov_b32_e32 v2, v1
	v_fmac_f32_e32 v53, -0.5, v12
	v_sub_f32_e32 v13, v56, v60
	v_add_f32_e32 v5, v5, v61
	v_fmac_f32_e32 v40, 0xbf5db3d7, v71
	v_fmac_f32_e32 v41, 0x3f5db3d7, v44
	;; [unrolled: 1-line block ×3, first 2 shown]
	v_mov_b32_e32 v3, v53
	ds_write_b32 v86, v0 offset:27000
	v_add_u32_e32 v0, 0x697c, v86
	ds_write_b64 v86, v[40:41] offset:21016
	v_fmac_f32_e32 v1, 0xbf5db3d7, v4
	v_fmac_f32_e32 v3, 0xbf5db3d7, v13
	ds_write2_b32 v0, v5, v2 offset1:1
	v_add_u32_e32 v0, 0x6984, v86
	v_fmac_f32_e32 v53, 0x3f5db3d7, v13
	ds_write2_b32 v0, v3, v1 offset1:1
	ds_write_b32 v86, v53 offset:27020
	v_mul_lo_u16_sdwa v0, v8, s5 dst_sel:DWORD dst_unused:UNUSED_PAD src0_sel:BYTE_0 src1_sel:DWORD
	v_lshrrev_b16_e32 v15, 9, v0
	v_mul_lo_u16_e32 v0, 3, v15
	v_sub_u16_e32 v49, v8, v0
	v_mov_b32_e32 v12, 5
	v_lshlrev_b32_sdwa v4, v12, v49 dst_sel:DWORD dst_unused:UNUSED_PAD src0_sel:DWORD src1_sel:BYTE_0
	s_waitcnt lgkmcnt(0)
	s_barrier
	global_load_dwordx4 v[0:3], v4, s[8:9]
	v_add_u32_e32 v6, 0x7d, v8
	v_mul_lo_u16_sdwa v5, v6, s5 dst_sel:DWORD dst_unused:UNUSED_PAD src0_sel:BYTE_0 src1_sel:DWORD
	v_lshrrev_b16_e32 v40, 9, v5
	v_mul_lo_u16_e32 v5, 3, v40
	v_sub_u16_e32 v41, v6, v5
	v_lshlrev_b32_sdwa v5, v12, v41 dst_sel:DWORD dst_unused:UNUSED_PAD src0_sel:DWORD src1_sel:BYTE_0
	global_load_dwordx4 v[42:45], v5, s[8:9]
	global_load_dwordx4 v[50:53], v4, s[8:9] offset:16
	global_load_dwordx4 v[54:57], v5, s[8:9] offset:16
	s_mov_b32 s5, 0xaaab
	v_add_u32_e32 v7, 0xfa, v8
	v_mul_u32_u24_sdwa v4, v7, s5 dst_sel:DWORD dst_unused:UNUSED_PAD src0_sel:WORD_0 src1_sel:DWORD
	v_lshrrev_b32_e32 v35, 17, v4
	v_mul_lo_u16_e32 v4, 3, v35
	v_add_u32_e32 v5, 0x177, v8
	v_sub_u16_e32 v36, v7, v4
	v_mul_u32_u24_sdwa v13, v5, s5 dst_sel:DWORD dst_unused:UNUSED_PAD src0_sel:WORD_0 src1_sel:DWORD
	v_lshlrev_b32_e32 v4, 5, v36
	v_lshrrev_b32_e32 v31, 17, v13
	global_load_dwordx4 v[58:61], v4, s[8:9]
	v_mul_lo_u16_e32 v13, 3, v31
	v_sub_u16_e32 v32, v5, v13
	v_lshlrev_b32_e32 v13, 5, v32
	global_load_dwordx4 v[88:91], v13, s[8:9]
	global_load_dwordx4 v[92:95], v4, s[8:9] offset:16
	ds_read2_b64 v[65:68], v28 offset0:110 offset1:235
	v_add_u32_e32 v14, 0x1f4, v8
	global_load_dwordx4 v[96:99], v13, s[8:9] offset:16
	ds_read2_b64 v[84:87], v26 offset0:92 offset1:217
	v_mul_u32_u24_e32 v40, 0x78, v40
	v_mul_u32_u24_e32 v35, 0x78, v35
	v_lshlrev_b32_e32 v36, 3, v36
	v_mul_u32_u24_e32 v31, 0x78, v31
	v_lshlrev_b32_e32 v32, 3, v32
	s_waitcnt vmcnt(7) lgkmcnt(1)
	v_mul_f32_e32 v4, v1, v66
	v_fma_f32 v64, v0, v65, -v4
	v_mul_u32_u24_sdwa v4, v14, s5 dst_sel:DWORD dst_unused:UNUSED_PAD src0_sel:WORD_0 src1_sel:DWORD
	v_lshrrev_b32_e32 v33, 17, v4
	v_mul_lo_u16_e32 v4, 3, v33
	v_sub_u16_e32 v34, v14, v4
	v_add_u32_e32 v4, 0x271, v8
	v_lshlrev_b32_e32 v37, 5, v34
	global_load_dwordx4 v[100:103], v37, s[8:9]
	v_mul_f32_e32 v78, v1, v65
	v_mul_u32_u24_sdwa v1, v4, s5 dst_sel:DWORD dst_unused:UNUSED_PAD src0_sel:WORD_0 src1_sel:DWORD
	v_lshrrev_b32_e32 v13, 17, v1
	v_mul_lo_u16_e32 v1, 3, v13
	v_sub_u16_e32 v30, v4, v1
	v_lshlrev_b32_e32 v38, 5, v30
	v_fmac_f32_e32 v78, v0, v66
	s_waitcnt lgkmcnt(0)
	v_mul_f32_e32 v0, v85, v3
	global_load_dwordx4 v[104:107], v38, s[8:9]
	v_fma_f32 v83, v84, v2, -v0
	v_mul_f32_e32 v82, v84, v3
	s_waitcnt vmcnt(8)
	v_mul_f32_e32 v0, v68, v43
	v_fmac_f32_e32 v82, v85, v2
	v_fma_f32 v73, v67, v42, -v0
	global_load_dwordx4 v[0:3], v37, s[8:9] offset:16
	global_load_dwordx4 v[108:111], v38, s[8:9] offset:16
	v_mul_f32_e32 v71, v67, v43
	v_fmac_f32_e32 v71, v68, v42
	v_mul_f32_e32 v37, v87, v45
	ds_read2_b64 v[65:68], v29 offset0:74 offset1:199
	v_mul_f32_e32 v75, v86, v45
	v_fma_f32 v76, v86, v44, -v37
	v_fmac_f32_e32 v75, v87, v44
	ds_read2_b64 v[42:45], v27 offset0:56 offset1:181
	s_waitcnt vmcnt(9) lgkmcnt(1)
	v_mul_f32_e32 v37, v66, v51
	v_fma_f32 v86, v65, v50, -v37
	v_mul_f32_e32 v84, v65, v51
	v_fmac_f32_e32 v84, v66, v50
	s_waitcnt lgkmcnt(0)
	v_mul_f32_e32 v37, v43, v53
	v_fma_f32 v87, v42, v52, -v37
	v_mul_f32_e32 v85, v42, v53
	s_waitcnt vmcnt(8)
	v_mul_f32_e32 v37, v68, v55
	v_fmac_f32_e32 v85, v43, v52
	v_fma_f32 v80, v67, v54, -v37
	v_mul_f32_e32 v37, v45, v57
	ds_read2_b64 v[50:53], v25 offset0:104 offset1:229
	v_mul_f32_e32 v79, v44, v57
	v_fma_f32 v81, v44, v56, -v37
	v_fmac_f32_e32 v79, v45, v56
	ds_read2_b64 v[42:45], v24 offset0:86 offset1:211
	s_waitcnt vmcnt(7) lgkmcnt(1)
	v_mul_f32_e32 v37, v51, v59
	v_mul_f32_e32 v77, v67, v55
	v_fma_f32 v67, v50, v58, -v37
	v_fmac_f32_e32 v77, v68, v54
	s_waitcnt lgkmcnt(0)
	v_mul_f32_e32 v37, v43, v61
	v_mul_f32_e32 v65, v50, v59
	v_fma_f32 v68, v42, v60, -v37
	s_waitcnt vmcnt(6)
	v_mul_f32_e32 v37, v53, v89
	v_mul_f32_e32 v56, v52, v89
	v_fmac_f32_e32 v65, v51, v58
	v_mul_f32_e32 v66, v42, v61
	v_fma_f32 v58, v52, v88, -v37
	v_fmac_f32_e32 v56, v53, v88
	v_mul_f32_e32 v37, v45, v91
	ds_read2_b64 v[50:53], v20 offset0:68 offset1:193
	v_mul_f32_e32 v57, v44, v91
	v_fmac_f32_e32 v66, v43, v60
	v_fma_f32 v59, v44, v90, -v37
	v_fmac_f32_e32 v57, v45, v90
	ds_read2_b64 v[42:45], v23 offset0:50 offset1:175
	s_waitcnt vmcnt(5) lgkmcnt(1)
	v_mul_f32_e32 v37, v51, v93
	v_fma_f32 v72, v50, v92, -v37
	v_mul_f32_e32 v69, v50, v93
	s_waitcnt vmcnt(4)
	v_mul_f32_e32 v60, v52, v97
	s_waitcnt lgkmcnt(0)
	v_mul_f32_e32 v37, v43, v95
	v_fma_f32 v74, v42, v94, -v37
	v_mul_f32_e32 v37, v53, v97
	v_fmac_f32_e32 v69, v51, v92
	v_mul_f32_e32 v70, v42, v95
	v_fma_f32 v62, v52, v96, -v37
	v_fmac_f32_e32 v60, v53, v96
	v_mul_f32_e32 v37, v45, v99
	ds_read2_b64 v[51:54], v9 offset0:98 offset1:223
	v_mul_f32_e32 v61, v44, v99
	v_fmac_f32_e32 v70, v43, v94
	v_fma_f32 v63, v44, v98, -v37
	v_fmac_f32_e32 v61, v45, v98
	ds_read2_b64 v[42:45], v19 offset0:80 offset1:205
	ds_read2_b64 v[88:91], v17 offset0:62 offset1:187
	;; [unrolled: 1-line block ×3, first 2 shown]
	s_waitcnt vmcnt(3) lgkmcnt(3)
	v_mul_f32_e32 v37, v52, v101
	v_fma_f32 v50, v51, v100, -v37
	s_waitcnt lgkmcnt(2)
	v_mul_f32_e32 v37, v43, v103
	v_mul_f32_e32 v47, v51, v101
	v_fma_f32 v51, v42, v102, -v37
	v_mul_f32_e32 v48, v42, v103
	v_fmac_f32_e32 v47, v52, v100
	v_fmac_f32_e32 v48, v43, v102
	s_waitcnt vmcnt(2)
	v_mul_f32_e32 v37, v54, v105
	v_fma_f32 v39, v53, v104, -v37
	v_mul_f32_e32 v37, v53, v105
	v_fmac_f32_e32 v37, v54, v104
	v_mul_f32_e32 v38, v45, v107
	v_fma_f32 v42, v44, v106, -v38
	s_waitcnt vmcnt(1) lgkmcnt(1)
	v_mul_f32_e32 v43, v89, v1
	v_mul_f32_e32 v52, v88, v1
	v_fma_f32 v54, v88, v0, -v43
	v_fmac_f32_e32 v52, v89, v0
	s_waitcnt lgkmcnt(0)
	v_mul_f32_e32 v0, v93, v3
	v_mul_f32_e32 v38, v44, v107
	v_fma_f32 v55, v92, v2, -v0
	s_waitcnt vmcnt(0)
	v_mul_f32_e32 v0, v91, v109
	v_fmac_f32_e32 v38, v45, v106
	v_mul_f32_e32 v53, v92, v3
	v_fma_f32 v45, v90, v108, -v0
	v_mul_f32_e32 v0, v95, v111
	v_fmac_f32_e32 v53, v93, v2
	v_fma_f32 v46, v94, v110, -v0
	ds_read2_b64 v[0:3], v16 offset1:125
	v_sub_f32_e32 v88, v64, v83
	v_sub_f32_e32 v89, v87, v86
	v_add_f32_e32 v88, v88, v89
	v_mul_f32_e32 v43, v90, v109
	s_waitcnt lgkmcnt(0)
	v_add_f32_e32 v89, v0, v64
	v_add_f32_e32 v89, v89, v83
	;; [unrolled: 1-line block ×6, first 2 shown]
	v_sub_f32_e32 v106, v64, v87
	v_sub_f32_e32 v107, v83, v86
	;; [unrolled: 1-line block ×3, first 2 shown]
	v_add_f32_e32 v64, v64, v87
	v_add_f32_e32 v90, v90, v82
	v_fma_f32 v99, -0.5, v89, v0
	v_add_f32_e32 v89, v82, v84
	v_fma_f32 v0, -0.5, v64, v0
	v_add_f32_e32 v64, v78, v85
	v_add_f32_e32 v90, v90, v84
	v_fma_f32 v100, -0.5, v89, v1
	v_sub_f32_e32 v86, v86, v87
	v_fma_f32 v1, -0.5, v64, v1
	v_add_f32_e32 v98, v90, v85
	v_sub_f32_e32 v89, v78, v82
	v_sub_f32_e32 v90, v85, v84
	;; [unrolled: 1-line block ×4, first 2 shown]
	v_add_f32_e32 v86, v83, v86
	v_mov_b32_e32 v83, v0
	v_sub_f32_e32 v64, v82, v78
	v_sub_f32_e32 v78, v84, v85
	v_mov_b32_e32 v84, v1
	v_add_f32_e32 v103, v89, v90
	v_mul_u32_u24_e32 v89, 0x78, v15
	v_mov_b32_e32 v15, 3
	v_mov_b32_e32 v101, v99
	;; [unrolled: 1-line block ×3, first 2 shown]
	v_fmac_f32_e32 v83, 0xbf737871, v105
	v_fmac_f32_e32 v0, 0x3f737871, v105
	v_fmac_f32_e32 v84, 0x3f737871, v107
	v_fmac_f32_e32 v1, 0xbf737871, v107
	v_lshlrev_b32_sdwa v49, v15, v49 dst_sel:DWORD dst_unused:UNUSED_PAD src0_sel:DWORD src1_sel:BYTE_0
	v_fmac_f32_e32 v101, 0x3f737871, v104
	v_fmac_f32_e32 v102, 0xbf737871, v106
	;; [unrolled: 1-line block ×4, first 2 shown]
	v_add_f32_e32 v64, v64, v78
	v_fmac_f32_e32 v84, 0xbf167918, v106
	v_fmac_f32_e32 v1, 0x3f167918, v106
	;; [unrolled: 1-line block ×4, first 2 shown]
	v_mul_f32_e32 v44, v94, v111
	v_add3_u32 v49, 0, v89, v49
	v_fmac_f32_e32 v101, 0x3f167918, v105
	v_fmac_f32_e32 v102, 0xbf167918, v107
	v_fmac_f32_e32 v83, 0x3e9e377a, v86
	v_fmac_f32_e32 v0, 0x3e9e377a, v86
	v_fmac_f32_e32 v84, 0x3e9e377a, v64
	v_fmac_f32_e32 v1, 0x3e9e377a, v64
	v_fmac_f32_e32 v99, 0xbf167918, v105
	v_fmac_f32_e32 v100, 0x3f167918, v107
	v_fmac_f32_e32 v43, v91, v108
	v_fmac_f32_e32 v44, v95, v110
	v_fmac_f32_e32 v101, 0x3e9e377a, v88
	v_fmac_f32_e32 v102, 0x3e9e377a, v103
	ds_read2_b64 v[89:92], v22 offset0:122 offset1:247
	ds_read2_b64 v[93:96], v21 offset0:116 offset1:241
	s_waitcnt lgkmcnt(0)
	s_barrier
	ds_write2_b64 v49, v[83:84], v[0:1] offset0:6 offset1:9
	v_fmac_f32_e32 v99, 0x3e9e377a, v88
	v_fmac_f32_e32 v100, 0x3e9e377a, v103
	v_add_f32_e32 v0, v76, v80
	v_add_f32_e32 v1, v73, v81
	ds_write2_b64 v49, v[97:98], v[101:102] offset1:3
	ds_write_b64 v49, v[99:100] offset:96
	v_add_f32_e32 v49, v2, v73
	v_fma_f32 v0, -0.5, v0, v2
	v_fma_f32 v2, -0.5, v1, v2
	v_sub_f32_e32 v1, v76, v73
	v_sub_f32_e32 v64, v80, v81
	v_add_f32_e32 v1, v1, v64
	v_sub_f32_e32 v64, v75, v77
	v_mov_b32_e32 v82, v2
	v_fmac_f32_e32 v82, 0xbf737871, v64
	v_sub_f32_e32 v78, v71, v79
	v_fmac_f32_e32 v2, 0x3f737871, v64
	v_fmac_f32_e32 v82, 0x3f167918, v78
	;; [unrolled: 1-line block ×5, first 2 shown]
	v_add_f32_e32 v1, v75, v77
	v_add_f32_e32 v83, v71, v79
	v_fma_f32 v1, -0.5, v1, v3
	v_add_f32_e32 v84, v3, v71
	v_fmac_f32_e32 v3, -0.5, v83
	v_sub_f32_e32 v83, v75, v71
	v_sub_f32_e32 v85, v77, v79
	v_add_f32_e32 v85, v83, v85
	v_mov_b32_e32 v83, v3
	v_sub_f32_e32 v86, v76, v80
	v_fmac_f32_e32 v83, 0x3f737871, v86
	v_sub_f32_e32 v87, v73, v81
	v_fmac_f32_e32 v3, 0xbf737871, v86
	v_fmac_f32_e32 v83, 0xbf167918, v87
	;; [unrolled: 1-line block ×3, first 2 shown]
	v_lshlrev_b32_sdwa v41, v15, v41 dst_sel:DWORD dst_unused:UNUSED_PAD src0_sel:DWORD src1_sel:BYTE_0
	v_fmac_f32_e32 v83, 0x3e9e377a, v85
	v_fmac_f32_e32 v3, 0x3e9e377a, v85
	v_add3_u32 v85, 0, v40, v41
	ds_write2_b64 v85, v[82:83], v[2:3] offset0:6 offset1:9
	v_sub_f32_e32 v3, v73, v76
	v_sub_f32_e32 v40, v81, v80
	v_add_f32_e32 v2, v49, v76
	v_add_f32_e32 v49, v3, v40
	v_sub_f32_e32 v40, v71, v75
	v_sub_f32_e32 v41, v79, v77
	v_add_f32_e32 v71, v40, v41
	v_mov_b32_e32 v40, v0
	v_mov_b32_e32 v41, v1
	v_add_f32_e32 v3, v84, v75
	v_fmac_f32_e32 v40, 0x3f737871, v78
	v_fmac_f32_e32 v41, 0xbf737871, v87
	v_add_f32_e32 v2, v2, v80
	v_add_f32_e32 v3, v3, v77
	v_fmac_f32_e32 v40, 0x3f167918, v64
	v_fmac_f32_e32 v41, 0xbf167918, v86
	v_fmac_f32_e32 v0, 0xbf737871, v78
	v_fmac_f32_e32 v1, 0x3f737871, v87
	v_add_f32_e32 v2, v2, v81
	v_add_f32_e32 v3, v3, v79
	v_fmac_f32_e32 v40, 0x3e9e377a, v49
	v_fmac_f32_e32 v41, 0x3e9e377a, v71
	;; [unrolled: 1-line block ×4, first 2 shown]
	ds_write2_b64 v85, v[2:3], v[40:41] offset1:3
	v_fmac_f32_e32 v0, 0x3e9e377a, v49
	v_fmac_f32_e32 v1, 0x3e9e377a, v71
	v_add_f32_e32 v2, v68, v72
	v_add_f32_e32 v3, v66, v69
	ds_write_b64 v85, v[0:1] offset:96
	v_sub_f32_e32 v0, v67, v68
	v_sub_f32_e32 v1, v74, v72
	v_fma_f32 v2, -0.5, v2, v89
	v_fma_f32 v3, -0.5, v3, v90
	v_sub_f32_e32 v41, v65, v66
	v_sub_f32_e32 v49, v70, v69
	v_add_f32_e32 v40, v0, v1
	v_add_f32_e32 v0, v89, v67
	;; [unrolled: 1-line block ×4, first 2 shown]
	v_add3_u32 v49, 0, v35, v36
	v_sub_f32_e32 v64, v65, v70
	v_mov_b32_e32 v35, v2
	v_mov_b32_e32 v36, v3
	v_sub_f32_e32 v73, v67, v74
	v_add_f32_e32 v0, v0, v68
	v_add_f32_e32 v1, v1, v66
	v_fmac_f32_e32 v35, 0x3f737871, v64
	v_sub_f32_e32 v71, v66, v69
	v_fmac_f32_e32 v36, 0xbf737871, v73
	v_sub_f32_e32 v75, v68, v72
	v_add_f32_e32 v0, v0, v72
	v_add_f32_e32 v1, v1, v69
	v_fmac_f32_e32 v35, 0x3f167918, v71
	v_fmac_f32_e32 v36, 0xbf167918, v75
	v_add_f32_e32 v0, v0, v74
	v_add_f32_e32 v1, v1, v70
	v_fmac_f32_e32 v35, 0x3e9e377a, v40
	v_fmac_f32_e32 v36, 0x3e9e377a, v41
	ds_write2_b64 v49, v[0:1], v[35:36] offset1:3
	v_sub_f32_e32 v0, v68, v67
	v_add_f32_e32 v1, v67, v74
	v_sub_f32_e32 v35, v72, v74
	v_add_f32_e32 v36, v0, v35
	v_fma_f32 v0, -0.5, v1, v89
	v_mov_b32_e32 v35, v0
	v_fmac_f32_e32 v35, 0xbf737871, v71
	v_fmac_f32_e32 v0, 0x3f737871, v71
	;; [unrolled: 1-line block ×4, first 2 shown]
	v_add_f32_e32 v1, v65, v70
	v_fmac_f32_e32 v35, 0x3e9e377a, v36
	v_fmac_f32_e32 v0, 0x3e9e377a, v36
	v_fma_f32 v1, -0.5, v1, v90
	v_sub_f32_e32 v36, v66, v65
	v_sub_f32_e32 v65, v69, v70
	v_add_f32_e32 v65, v36, v65
	v_mov_b32_e32 v36, v1
	v_fmac_f32_e32 v36, 0x3f737871, v75
	v_fmac_f32_e32 v1, 0xbf737871, v75
	;; [unrolled: 1-line block ×10, first 2 shown]
	ds_write2_b64 v49, v[35:36], v[0:1] offset0:6 offset1:9
	v_fmac_f32_e32 v2, 0x3e9e377a, v40
	v_fmac_f32_e32 v3, 0x3e9e377a, v41
	v_add_f32_e32 v0, v59, v62
	v_add_f32_e32 v1, v58, v63
	ds_write_b64 v49, v[2:3] offset:96
	v_add_f32_e32 v35, v91, v58
	v_fma_f32 v0, -0.5, v0, v91
	v_fma_f32 v91, -0.5, v1, v91
	v_sub_f32_e32 v1, v59, v58
	v_sub_f32_e32 v2, v62, v63
	v_add_f32_e32 v1, v1, v2
	v_sub_f32_e32 v36, v57, v60
	v_mov_b32_e32 v2, v91
	v_fmac_f32_e32 v2, 0xbf737871, v36
	v_sub_f32_e32 v40, v56, v61
	v_fmac_f32_e32 v91, 0x3f737871, v36
	v_fmac_f32_e32 v2, 0x3f167918, v40
	;; [unrolled: 1-line block ×5, first 2 shown]
	v_add_f32_e32 v1, v57, v60
	v_add_f32_e32 v3, v56, v61
	v_fma_f32 v1, -0.5, v1, v92
	v_add_f32_e32 v41, v92, v56
	v_fmac_f32_e32 v92, -0.5, v3
	v_sub_f32_e32 v3, v57, v56
	v_sub_f32_e32 v49, v60, v61
	v_add_f32_e32 v49, v3, v49
	v_mov_b32_e32 v3, v92
	v_sub_f32_e32 v64, v59, v62
	v_fmac_f32_e32 v3, 0x3f737871, v64
	v_sub_f32_e32 v65, v58, v63
	v_fmac_f32_e32 v92, 0xbf737871, v64
	v_fmac_f32_e32 v3, 0xbf167918, v65
	;; [unrolled: 1-line block ×5, first 2 shown]
	v_add3_u32 v49, 0, v31, v32
	ds_write2_b64 v49, v[2:3], v[91:92] offset0:6 offset1:9
	v_sub_f32_e32 v3, v58, v59
	v_sub_f32_e32 v31, v63, v62
	v_add_f32_e32 v2, v35, v59
	v_add_f32_e32 v35, v3, v31
	v_sub_f32_e32 v31, v56, v57
	v_sub_f32_e32 v32, v61, v60
	v_add_f32_e32 v3, v41, v57
	v_add_f32_e32 v41, v31, v32
	v_mov_b32_e32 v31, v0
	v_mov_b32_e32 v32, v1
	v_fmac_f32_e32 v31, 0x3f737871, v40
	v_fmac_f32_e32 v32, 0xbf737871, v65
	v_add_f32_e32 v2, v2, v62
	v_add_f32_e32 v3, v3, v60
	v_fmac_f32_e32 v31, 0x3f167918, v36
	v_fmac_f32_e32 v32, 0xbf167918, v64
	;; [unrolled: 1-line block ×4, first 2 shown]
	v_add_f32_e32 v2, v2, v63
	v_add_f32_e32 v3, v3, v61
	v_fmac_f32_e32 v31, 0x3e9e377a, v35
	v_fmac_f32_e32 v32, 0x3e9e377a, v41
	;; [unrolled: 1-line block ×4, first 2 shown]
	ds_write2_b64 v49, v[2:3], v[31:32] offset1:3
	v_fmac_f32_e32 v0, 0x3e9e377a, v35
	v_fmac_f32_e32 v1, 0x3e9e377a, v41
	v_add_f32_e32 v2, v51, v54
	v_add_f32_e32 v3, v48, v52
	v_sub_f32_e32 v31, v47, v48
	v_sub_f32_e32 v32, v53, v52
	ds_write_b64 v49, v[0:1] offset:96
	v_sub_f32_e32 v0, v50, v51
	v_sub_f32_e32 v1, v55, v54
	v_fma_f32 v2, -0.5, v2, v93
	v_fma_f32 v3, -0.5, v3, v94
	v_add_f32_e32 v36, v31, v32
	v_mul_u32_u24_e32 v31, 0x78, v33
	v_lshlrev_b32_e32 v32, 3, v34
	v_add_f32_e32 v35, v0, v1
	v_add_f32_e32 v0, v93, v50
	;; [unrolled: 1-line block ×3, first 2 shown]
	v_add3_u32 v33, 0, v31, v32
	v_sub_f32_e32 v34, v47, v53
	v_mov_b32_e32 v31, v2
	v_mov_b32_e32 v32, v3
	v_sub_f32_e32 v41, v50, v55
	v_add_f32_e32 v0, v0, v51
	v_add_f32_e32 v1, v1, v48
	v_fmac_f32_e32 v31, 0x3f737871, v34
	v_sub_f32_e32 v40, v48, v52
	v_fmac_f32_e32 v32, 0xbf737871, v41
	v_sub_f32_e32 v49, v51, v54
	v_add_f32_e32 v0, v0, v54
	v_add_f32_e32 v1, v1, v52
	v_fmac_f32_e32 v31, 0x3f167918, v40
	v_fmac_f32_e32 v32, 0xbf167918, v49
	v_add_f32_e32 v0, v0, v55
	v_add_f32_e32 v1, v1, v53
	v_fmac_f32_e32 v31, 0x3e9e377a, v35
	v_fmac_f32_e32 v32, 0x3e9e377a, v36
	ds_write2_b64 v33, v[0:1], v[31:32] offset1:3
	v_sub_f32_e32 v0, v51, v50
	v_add_f32_e32 v1, v50, v55
	v_sub_f32_e32 v31, v54, v55
	v_add_f32_e32 v32, v0, v31
	v_fma_f32 v0, -0.5, v1, v93
	v_mov_b32_e32 v31, v0
	v_fmac_f32_e32 v31, 0xbf737871, v40
	v_fmac_f32_e32 v0, 0x3f737871, v40
	;; [unrolled: 1-line block ×4, first 2 shown]
	v_add_f32_e32 v1, v47, v53
	v_fmac_f32_e32 v31, 0x3e9e377a, v32
	v_fmac_f32_e32 v0, 0x3e9e377a, v32
	v_fma_f32 v1, -0.5, v1, v94
	v_sub_f32_e32 v32, v48, v47
	v_sub_f32_e32 v47, v52, v53
	v_add_f32_e32 v47, v32, v47
	v_mov_b32_e32 v32, v1
	v_fmac_f32_e32 v32, 0x3f737871, v49
	v_fmac_f32_e32 v1, 0xbf737871, v49
	;; [unrolled: 1-line block ×10, first 2 shown]
	ds_write2_b64 v33, v[31:32], v[0:1] offset0:6 offset1:9
	v_fmac_f32_e32 v2, 0x3e9e377a, v35
	v_fmac_f32_e32 v3, 0x3e9e377a, v36
	v_add_f32_e32 v0, v42, v45
	v_add_f32_e32 v1, v39, v46
	ds_write_b64 v33, v[2:3] offset:96
	v_add_f32_e32 v31, v95, v39
	v_fma_f32 v0, -0.5, v0, v95
	v_fma_f32 v95, -0.5, v1, v95
	v_sub_f32_e32 v1, v42, v39
	v_sub_f32_e32 v2, v45, v46
	v_add_f32_e32 v1, v1, v2
	v_sub_f32_e32 v32, v38, v43
	v_mov_b32_e32 v2, v95
	v_fmac_f32_e32 v2, 0xbf737871, v32
	v_sub_f32_e32 v33, v37, v44
	v_fmac_f32_e32 v95, 0x3f737871, v32
	v_fmac_f32_e32 v2, 0x3f167918, v33
	v_fmac_f32_e32 v95, 0xbf167918, v33
	v_fmac_f32_e32 v2, 0x3e9e377a, v1
	v_fmac_f32_e32 v95, 0x3e9e377a, v1
	v_add_f32_e32 v1, v38, v43
	v_add_f32_e32 v3, v37, v44
	v_fma_f32 v1, -0.5, v1, v96
	v_add_f32_e32 v34, v96, v37
	v_fmac_f32_e32 v96, -0.5, v3
	v_sub_f32_e32 v3, v38, v37
	v_sub_f32_e32 v35, v43, v44
	v_add_f32_e32 v35, v3, v35
	v_mov_b32_e32 v3, v96
	v_sub_f32_e32 v36, v42, v45
	v_fmac_f32_e32 v3, 0x3f737871, v36
	v_sub_f32_e32 v40, v39, v46
	v_fmac_f32_e32 v96, 0xbf737871, v36
	v_fmac_f32_e32 v3, 0xbf167918, v40
	;; [unrolled: 1-line block ×3, first 2 shown]
	v_mul_u32_u24_e32 v13, 0x78, v13
	v_lshlrev_b32_e32 v30, 3, v30
	v_fmac_f32_e32 v3, 0x3e9e377a, v35
	v_fmac_f32_e32 v96, 0x3e9e377a, v35
	v_add3_u32 v13, 0, v13, v30
	ds_write2_b64 v13, v[2:3], v[95:96] offset0:6 offset1:9
	v_sub_f32_e32 v3, v39, v42
	v_sub_f32_e32 v30, v46, v45
	v_add_f32_e32 v2, v31, v42
	v_add_f32_e32 v35, v3, v30
	v_sub_f32_e32 v30, v37, v38
	v_sub_f32_e32 v31, v44, v43
	v_add_f32_e32 v3, v34, v38
	v_add_f32_e32 v34, v30, v31
	v_mov_b32_e32 v30, v0
	v_mov_b32_e32 v31, v1
	v_fmac_f32_e32 v0, 0xbf737871, v33
	v_fmac_f32_e32 v1, 0x3f737871, v40
	;; [unrolled: 1-line block ×6, first 2 shown]
	s_movk_i32 s5, 0x89
	ds_write_b64 v13, v[0:1] offset:96
	v_mul_lo_u16_sdwa v0, v8, s5 dst_sel:DWORD dst_unused:UNUSED_PAD src0_sel:BYTE_0 src1_sel:DWORD
	v_fmac_f32_e32 v30, 0x3f737871, v33
	v_fmac_f32_e32 v31, 0xbf737871, v40
	v_lshrrev_b16_e32 v49, 11, v0
	v_add_f32_e32 v2, v2, v45
	v_add_f32_e32 v3, v3, v43
	v_fmac_f32_e32 v30, 0x3f167918, v32
	v_fmac_f32_e32 v31, 0xbf167918, v36
	v_mul_lo_u16_e32 v0, 15, v49
	v_add_f32_e32 v2, v2, v46
	v_add_f32_e32 v3, v3, v44
	v_fmac_f32_e32 v30, 0x3e9e377a, v35
	v_fmac_f32_e32 v31, 0x3e9e377a, v34
	v_sub_u16_e32 v50, v8, v0
	ds_write2_b64 v13, v[2:3], v[30:31] offset1:3
	v_lshlrev_b32_sdwa v13, v12, v50 dst_sel:DWORD dst_unused:UNUSED_PAD src0_sel:DWORD src1_sel:BYTE_0
	s_waitcnt lgkmcnt(0)
	s_barrier
	global_load_dwordx4 v[0:3], v13, s[8:9] offset:96
	v_mul_lo_u16_sdwa v30, v6, s5 dst_sel:DWORD dst_unused:UNUSED_PAD src0_sel:BYTE_0 src1_sel:DWORD
	v_lshrrev_b16_e32 v41, 11, v30
	v_mul_lo_u16_e32 v30, 15, v41
	v_sub_u16_e32 v42, v6, v30
	v_lshlrev_b32_sdwa v12, v12, v42 dst_sel:DWORD dst_unused:UNUSED_PAD src0_sel:DWORD src1_sel:BYTE_0
	global_load_dwordx4 v[37:40], v12, s[8:9] offset:96
	global_load_dwordx4 v[43:46], v13, s[8:9] offset:112
	;; [unrolled: 1-line block ×3, first 2 shown]
	s_mov_b32 s5, 0x8889
	v_mul_u32_u24_sdwa v12, v7, s5 dst_sel:DWORD dst_unused:UNUSED_PAD src0_sel:WORD_0 src1_sel:DWORD
	v_lshrrev_b32_e32 v34, 19, v12
	v_mul_lo_u16_e32 v12, 15, v34
	v_sub_u16_e32 v36, v7, v12
	v_mul_u32_u24_sdwa v13, v5, s5 dst_sel:DWORD dst_unused:UNUSED_PAD src0_sel:WORD_0 src1_sel:DWORD
	v_lshlrev_b32_e32 v12, 5, v36
	v_lshrrev_b32_e32 v30, 19, v13
	global_load_dwordx4 v[55:58], v12, s[8:9] offset:96
	v_mul_lo_u16_e32 v13, 15, v30
	v_sub_u16_e32 v31, v5, v13
	v_lshlrev_b32_e32 v13, 5, v31
	global_load_dwordx4 v[59:62], v13, s[8:9] offset:96
	global_load_dwordx4 v[88:91], v12, s[8:9] offset:112
	ds_read2_b64 v[63:66], v28 offset0:110 offset1:235
	global_load_dwordx4 v[92:95], v13, s[8:9] offset:112
	v_mul_u32_u24_sdwa v13, v14, s5 dst_sel:DWORD dst_unused:UNUSED_PAD src0_sel:WORD_0 src1_sel:DWORD
	v_lshrrev_b32_e32 v32, 19, v13
	v_mul_lo_u16_e32 v13, 15, v32
	v_sub_u16_e32 v33, v14, v13
	ds_read2_b64 v[84:87], v26 offset0:92 offset1:217
	v_lshlrev_b32_e32 v35, 5, v33
	global_load_dwordx4 v[96:99], v35, s[8:9] offset:96
	v_mul_u32_u24_e32 v49, 0x258, v49
	v_lshlrev_b32_sdwa v50, v15, v50 dst_sel:DWORD dst_unused:UNUSED_PAD src0_sel:DWORD src1_sel:BYTE_0
	v_mul_u32_u24_e32 v41, 0x258, v41
	v_lshlrev_b32_sdwa v42, v15, v42 dst_sel:DWORD dst_unused:UNUSED_PAD src0_sel:DWORD src1_sel:BYTE_0
	v_mul_u32_u24_e32 v34, 0x258, v34
	v_lshlrev_b32_e32 v36, 3, v36
	v_add3_u32 v34, 0, v34, v36
	v_mul_u32_u24_e32 v30, 0x258, v30
	v_lshlrev_b32_e32 v31, 3, v31
	s_waitcnt vmcnt(8) lgkmcnt(1)
	v_mul_f32_e32 v12, v1, v64
	v_mul_f32_e32 v77, v1, v63
	v_mul_u32_u24_sdwa v1, v4, s5 dst_sel:DWORD dst_unused:UNUSED_PAD src0_sel:WORD_0 src1_sel:DWORD
	v_fma_f32 v81, v0, v63, -v12
	v_lshrrev_b32_e32 v12, 19, v1
	v_mul_lo_u16_e32 v1, 15, v12
	v_sub_u16_e32 v13, v4, v1
	v_lshlrev_b32_e32 v47, 5, v13
	global_load_dwordx4 v[100:103], v47, s[8:9] offset:96
	global_load_dwordx4 v[104:107], v47, s[8:9] offset:112
	v_fmac_f32_e32 v77, v0, v64
	s_waitcnt lgkmcnt(0)
	v_mul_f32_e32 v0, v3, v85
	v_fma_f32 v83, v2, v84, -v0
	v_mul_f32_e32 v82, v3, v84
	s_waitcnt vmcnt(9)
	v_mul_f32_e32 v0, v66, v38
	v_fmac_f32_e32 v82, v2, v85
	v_fma_f32 v72, v65, v37, -v0
	global_load_dwordx4 v[0:3], v35, s[8:9] offset:112
	v_mul_f32_e32 v70, v65, v38
	v_fmac_f32_e32 v70, v66, v37
	v_mul_f32_e32 v35, v87, v40
	ds_read2_b64 v[63:66], v29 offset0:74 offset1:199
	v_mul_f32_e32 v74, v86, v40
	v_fma_f32 v75, v86, v39, -v35
	v_fmac_f32_e32 v74, v87, v39
	ds_read2_b64 v[37:40], v27 offset0:56 offset1:181
	s_waitcnt vmcnt(9) lgkmcnt(1)
	v_mul_f32_e32 v35, v44, v64
	v_fma_f32 v86, v43, v63, -v35
	v_mul_f32_e32 v84, v44, v63
	v_fmac_f32_e32 v84, v43, v64
	s_waitcnt lgkmcnt(0)
	v_mul_f32_e32 v35, v38, v46
	v_fma_f32 v87, v37, v45, -v35
	v_mul_f32_e32 v85, v37, v46
	s_waitcnt vmcnt(8)
	v_mul_f32_e32 v35, v66, v52
	v_fmac_f32_e32 v85, v38, v45
	v_fma_f32 v79, v65, v51, -v35
	v_mul_f32_e32 v35, v40, v54
	ds_read2_b64 v[43:46], v25 offset0:104 offset1:229
	v_mul_f32_e32 v78, v39, v54
	v_fma_f32 v80, v39, v53, -v35
	v_fmac_f32_e32 v78, v40, v53
	ds_read2_b64 v[37:40], v24 offset0:86 offset1:211
	v_mul_f32_e32 v76, v65, v52
	s_waitcnt vmcnt(7) lgkmcnt(1)
	v_mul_f32_e32 v35, v44, v56
	v_fmac_f32_e32 v76, v66, v51
	v_fma_f32 v66, v43, v55, -v35
	s_waitcnt lgkmcnt(0)
	v_mul_f32_e32 v35, v38, v58
	v_mul_f32_e32 v64, v43, v56
	v_fma_f32 v67, v37, v57, -v35
	v_mul_f32_e32 v65, v37, v58
	s_waitcnt vmcnt(6)
	v_mul_f32_e32 v35, v46, v60
	v_mul_f32_e32 v56, v45, v60
	v_fmac_f32_e32 v64, v44, v55
	v_fmac_f32_e32 v65, v38, v57
	v_fma_f32 v58, v45, v59, -v35
	v_fmac_f32_e32 v56, v46, v59
	v_mul_f32_e32 v35, v40, v62
	ds_read2_b64 v[43:46], v20 offset0:68 offset1:193
	v_mul_f32_e32 v57, v39, v62
	v_fma_f32 v59, v39, v61, -v35
	v_fmac_f32_e32 v57, v40, v61
	ds_read2_b64 v[37:40], v23 offset0:50 offset1:175
	s_waitcnt vmcnt(5) lgkmcnt(1)
	v_mul_f32_e32 v35, v44, v89
	v_fma_f32 v71, v43, v88, -v35
	v_mul_f32_e32 v68, v43, v89
	v_fmac_f32_e32 v68, v44, v88
	s_waitcnt lgkmcnt(0)
	v_mul_f32_e32 v35, v38, v91
	v_mul_f32_e32 v69, v37, v91
	v_fma_f32 v73, v37, v90, -v35
	v_fmac_f32_e32 v69, v38, v90
	ds_read2_b64 v[51:54], v9 offset0:98 offset1:223
	ds_read2_b64 v[88:91], v19 offset0:80 offset1:205
	s_waitcnt vmcnt(4)
	v_mul_f32_e32 v35, v46, v93
	v_fma_f32 v62, v45, v92, -v35
	v_mul_f32_e32 v35, v40, v95
	v_mul_f32_e32 v60, v45, v93
	v_fma_f32 v63, v39, v94, -v35
	v_mul_f32_e32 v61, v39, v95
	s_waitcnt vmcnt(3) lgkmcnt(1)
	v_mul_f32_e32 v35, v52, v97
	v_fmac_f32_e32 v60, v46, v92
	v_fmac_f32_e32 v61, v40, v94
	v_fma_f32 v48, v51, v96, -v35
	s_waitcnt lgkmcnt(0)
	v_mul_f32_e32 v35, v89, v99
	v_mul_f32_e32 v47, v88, v99
	ds_read2_b64 v[92:95], v17 offset0:62 offset1:187
	v_mul_f32_e32 v46, v51, v97
	v_fma_f32 v51, v88, v98, -v35
	v_fmac_f32_e32 v47, v89, v98
	s_waitcnt vmcnt(2)
	v_mul_f32_e32 v37, v91, v103
	v_fma_f32 v39, v90, v102, -v37
	v_mul_f32_e32 v37, v90, v103
	v_fmac_f32_e32 v37, v91, v102
	ds_read2_b64 v[88:91], v18 offset0:44 offset1:169
	v_mul_f32_e32 v35, v54, v101
	v_fmac_f32_e32 v46, v52, v96
	v_fma_f32 v38, v53, v100, -v35
	v_mul_f32_e32 v35, v53, v101
	s_waitcnt vmcnt(0) lgkmcnt(1)
	v_mul_f32_e32 v40, v93, v1
	v_mul_f32_e32 v52, v92, v1
	v_fmac_f32_e32 v35, v54, v100
	v_fma_f32 v54, v92, v0, -v40
	v_fmac_f32_e32 v52, v93, v0
	s_waitcnt lgkmcnt(0)
	v_mul_f32_e32 v0, v89, v3
	v_fma_f32 v55, v88, v2, -v0
	v_mul_f32_e32 v0, v95, v105
	v_mul_f32_e32 v53, v88, v3
	v_fma_f32 v44, v94, v104, -v0
	v_mul_f32_e32 v0, v91, v107
	v_fmac_f32_e32 v53, v89, v2
	v_fma_f32 v45, v90, v106, -v0
	ds_read2_b64 v[0:3], v16 offset1:125
	v_sub_f32_e32 v88, v81, v83
	v_sub_f32_e32 v89, v87, v86
	v_add_f32_e32 v88, v88, v89
	v_mul_f32_e32 v43, v90, v107
	s_waitcnt lgkmcnt(0)
	v_add_f32_e32 v89, v0, v81
	v_add_f32_e32 v89, v89, v83
	;; [unrolled: 1-line block ×6, first 2 shown]
	v_fma_f32 v99, -0.5, v89, v0
	v_add_f32_e32 v89, v82, v84
	v_add_f32_e32 v90, v90, v82
	v_fma_f32 v100, -0.5, v89, v1
	v_mul_f32_e32 v40, v94, v105
	v_add_f32_e32 v90, v90, v84
	v_add3_u32 v102, 0, v49, v50
	v_sub_f32_e32 v103, v77, v85
	v_mov_b32_e32 v49, v99
	v_mov_b32_e32 v50, v100
	v_sub_f32_e32 v105, v81, v87
	v_fmac_f32_e32 v40, v95, v104
	v_fmac_f32_e32 v43, v91, v106
	v_add_f32_e32 v98, v90, v85
	v_sub_f32_e32 v89, v77, v82
	v_sub_f32_e32 v90, v85, v84
	v_fmac_f32_e32 v49, 0x3f737871, v103
	v_sub_f32_e32 v104, v82, v84
	v_fmac_f32_e32 v50, 0xbf737871, v105
	v_sub_f32_e32 v106, v83, v86
	v_add_f32_e32 v101, v89, v90
	v_fmac_f32_e32 v49, 0x3f167918, v104
	v_fmac_f32_e32 v50, 0xbf167918, v106
	;; [unrolled: 1-line block ×4, first 2 shown]
	ds_read2_b64 v[89:92], v22 offset0:122 offset1:247
	ds_read2_b64 v[93:96], v21 offset0:116 offset1:241
	s_waitcnt lgkmcnt(0)
	s_barrier
	ds_write2_b64 v102, v[97:98], v[49:50] offset1:15
	v_add_f32_e32 v50, v81, v87
	v_fma_f32 v0, -0.5, v50, v0
	v_add_f32_e32 v50, v77, v85
	v_sub_f32_e32 v49, v83, v81
	v_sub_f32_e32 v81, v86, v87
	v_fma_f32 v1, -0.5, v50, v1
	v_sub_f32_e32 v50, v82, v77
	v_sub_f32_e32 v77, v84, v85
	v_add_f32_e32 v81, v49, v81
	v_mov_b32_e32 v49, v0
	v_add_f32_e32 v77, v50, v77
	v_mov_b32_e32 v50, v1
	v_fmac_f32_e32 v49, 0xbf737871, v104
	v_fmac_f32_e32 v0, 0x3f737871, v104
	;; [unrolled: 1-line block ×12, first 2 shown]
	ds_write2_b64 v102, v[49:50], v[0:1] offset0:30 offset1:45
	v_add_f32_e32 v0, v75, v79
	v_add_f32_e32 v1, v72, v80
	;; [unrolled: 1-line block ×3, first 2 shown]
	v_fma_f32 v0, -0.5, v0, v2
	v_fma_f32 v2, -0.5, v1, v2
	v_sub_f32_e32 v1, v75, v72
	v_sub_f32_e32 v49, v79, v80
	v_add_f32_e32 v1, v1, v49
	v_sub_f32_e32 v81, v74, v76
	v_mov_b32_e32 v49, v2
	v_fmac_f32_e32 v49, 0xbf737871, v81
	v_sub_f32_e32 v82, v70, v78
	v_fmac_f32_e32 v2, 0x3f737871, v81
	v_fmac_f32_e32 v49, 0x3f167918, v82
	;; [unrolled: 1-line block ×5, first 2 shown]
	v_add_f32_e32 v1, v74, v76
	v_add_f32_e32 v50, v70, v78
	v_fma_f32 v1, -0.5, v1, v3
	v_add_f32_e32 v83, v3, v70
	v_fmac_f32_e32 v3, -0.5, v50
	v_sub_f32_e32 v50, v74, v70
	v_sub_f32_e32 v84, v76, v78
	v_add_f32_e32 v84, v50, v84
	v_mov_b32_e32 v50, v3
	v_sub_f32_e32 v85, v75, v79
	v_fmac_f32_e32 v99, 0xbf737871, v103
	v_fmac_f32_e32 v100, 0x3f737871, v105
	;; [unrolled: 1-line block ×3, first 2 shown]
	v_sub_f32_e32 v86, v72, v80
	v_fmac_f32_e32 v3, 0xbf737871, v85
	v_fmac_f32_e32 v99, 0xbf167918, v104
	;; [unrolled: 1-line block ×9, first 2 shown]
	v_add3_u32 v84, 0, v41, v42
	ds_write_b64 v102, v[99:100] offset:480
	ds_write2_b64 v84, v[49:50], v[2:3] offset0:30 offset1:45
	v_sub_f32_e32 v3, v72, v75
	v_sub_f32_e32 v41, v80, v79
	v_add_f32_e32 v49, v3, v41
	v_sub_f32_e32 v41, v70, v74
	v_sub_f32_e32 v42, v78, v76
	v_add_f32_e32 v50, v41, v42
	v_mov_b32_e32 v41, v0
	v_mov_b32_e32 v42, v1
	v_add_f32_e32 v2, v77, v75
	v_add_f32_e32 v3, v83, v74
	v_fmac_f32_e32 v41, 0x3f737871, v82
	v_fmac_f32_e32 v42, 0xbf737871, v86
	v_add_f32_e32 v2, v2, v79
	v_add_f32_e32 v3, v3, v76
	v_fmac_f32_e32 v41, 0x3f167918, v81
	v_fmac_f32_e32 v42, 0xbf167918, v85
	v_fmac_f32_e32 v0, 0xbf737871, v82
	v_fmac_f32_e32 v1, 0x3f737871, v86
	v_add_f32_e32 v2, v2, v80
	v_add_f32_e32 v3, v3, v78
	v_fmac_f32_e32 v41, 0x3e9e377a, v49
	v_fmac_f32_e32 v42, 0x3e9e377a, v50
	;; [unrolled: 1-line block ×4, first 2 shown]
	ds_write2_b64 v84, v[2:3], v[41:42] offset1:15
	v_fmac_f32_e32 v0, 0x3e9e377a, v49
	v_fmac_f32_e32 v1, 0x3e9e377a, v50
	v_add_f32_e32 v2, v67, v71
	v_add_f32_e32 v3, v65, v68
	ds_write_b64 v84, v[0:1] offset:480
	v_sub_f32_e32 v0, v66, v67
	v_sub_f32_e32 v1, v73, v71
	v_fma_f32 v2, -0.5, v2, v89
	v_fma_f32 v3, -0.5, v3, v90
	v_sub_f32_e32 v41, v64, v65
	v_sub_f32_e32 v42, v69, v68
	v_add_f32_e32 v49, v0, v1
	v_add_f32_e32 v0, v89, v66
	v_add_f32_e32 v1, v90, v64
	v_add_f32_e32 v50, v41, v42
	v_sub_f32_e32 v36, v64, v69
	v_mov_b32_e32 v41, v2
	v_mov_b32_e32 v42, v3
	v_sub_f32_e32 v72, v66, v73
	v_add_f32_e32 v0, v0, v67
	v_add_f32_e32 v1, v1, v65
	v_fmac_f32_e32 v41, 0x3f737871, v36
	v_sub_f32_e32 v70, v65, v68
	v_fmac_f32_e32 v42, 0xbf737871, v72
	v_sub_f32_e32 v74, v67, v71
	v_add_f32_e32 v0, v0, v71
	v_add_f32_e32 v1, v1, v68
	v_fmac_f32_e32 v41, 0x3f167918, v70
	v_fmac_f32_e32 v42, 0xbf167918, v74
	v_add_f32_e32 v0, v0, v73
	v_add_f32_e32 v1, v1, v69
	v_fmac_f32_e32 v41, 0x3e9e377a, v49
	v_fmac_f32_e32 v42, 0x3e9e377a, v50
	ds_write2_b64 v34, v[0:1], v[41:42] offset1:15
	v_sub_f32_e32 v0, v67, v66
	v_add_f32_e32 v1, v66, v73
	v_sub_f32_e32 v41, v71, v73
	v_add_f32_e32 v42, v0, v41
	v_fma_f32 v0, -0.5, v1, v89
	v_mov_b32_e32 v41, v0
	v_fmac_f32_e32 v41, 0xbf737871, v70
	v_fmac_f32_e32 v0, 0x3f737871, v70
	;; [unrolled: 1-line block ×4, first 2 shown]
	v_add_f32_e32 v1, v64, v69
	v_fmac_f32_e32 v41, 0x3e9e377a, v42
	v_fmac_f32_e32 v0, 0x3e9e377a, v42
	v_fma_f32 v1, -0.5, v1, v90
	v_sub_f32_e32 v42, v65, v64
	v_sub_f32_e32 v64, v68, v69
	v_add_f32_e32 v64, v42, v64
	v_mov_b32_e32 v42, v1
	v_fmac_f32_e32 v42, 0x3f737871, v74
	v_fmac_f32_e32 v1, 0xbf737871, v74
	;; [unrolled: 1-line block ×10, first 2 shown]
	ds_write2_b64 v34, v[41:42], v[0:1] offset0:30 offset1:45
	v_fmac_f32_e32 v2, 0x3e9e377a, v49
	v_fmac_f32_e32 v3, 0x3e9e377a, v50
	v_add_f32_e32 v0, v59, v62
	v_add_f32_e32 v1, v58, v63
	ds_write_b64 v34, v[2:3] offset:480
	v_add_f32_e32 v34, v91, v58
	v_fma_f32 v0, -0.5, v0, v91
	v_fma_f32 v91, -0.5, v1, v91
	v_sub_f32_e32 v1, v59, v58
	v_sub_f32_e32 v2, v62, v63
	v_add_f32_e32 v1, v1, v2
	v_sub_f32_e32 v36, v57, v60
	v_mov_b32_e32 v2, v91
	v_fmac_f32_e32 v2, 0xbf737871, v36
	v_sub_f32_e32 v41, v56, v61
	v_fmac_f32_e32 v91, 0x3f737871, v36
	v_fmac_f32_e32 v2, 0x3f167918, v41
	;; [unrolled: 1-line block ×5, first 2 shown]
	v_add_f32_e32 v1, v57, v60
	v_add_f32_e32 v3, v56, v61
	v_fma_f32 v1, -0.5, v1, v92
	v_add_f32_e32 v42, v92, v56
	v_fmac_f32_e32 v92, -0.5, v3
	v_sub_f32_e32 v3, v57, v56
	v_sub_f32_e32 v49, v60, v61
	v_add_f32_e32 v49, v3, v49
	v_mov_b32_e32 v3, v92
	v_sub_f32_e32 v50, v59, v62
	v_fmac_f32_e32 v3, 0x3f737871, v50
	v_sub_f32_e32 v64, v58, v63
	v_fmac_f32_e32 v92, 0xbf737871, v50
	v_fmac_f32_e32 v3, 0xbf167918, v64
	;; [unrolled: 1-line block ×5, first 2 shown]
	v_add3_u32 v49, 0, v30, v31
	ds_write2_b64 v49, v[2:3], v[91:92] offset0:30 offset1:45
	v_sub_f32_e32 v3, v58, v59
	v_sub_f32_e32 v30, v63, v62
	v_add_f32_e32 v2, v34, v59
	v_add_f32_e32 v34, v3, v30
	v_sub_f32_e32 v30, v56, v57
	v_sub_f32_e32 v31, v61, v60
	v_add_f32_e32 v3, v42, v57
	v_add_f32_e32 v42, v30, v31
	v_mov_b32_e32 v30, v0
	v_mov_b32_e32 v31, v1
	v_fmac_f32_e32 v30, 0x3f737871, v41
	v_fmac_f32_e32 v31, 0xbf737871, v64
	v_add_f32_e32 v2, v2, v62
	v_add_f32_e32 v3, v3, v60
	v_fmac_f32_e32 v30, 0x3f167918, v36
	v_fmac_f32_e32 v31, 0xbf167918, v50
	;; [unrolled: 1-line block ×4, first 2 shown]
	v_add_f32_e32 v2, v2, v63
	v_add_f32_e32 v3, v3, v61
	v_fmac_f32_e32 v30, 0x3e9e377a, v34
	v_fmac_f32_e32 v31, 0x3e9e377a, v42
	;; [unrolled: 1-line block ×4, first 2 shown]
	ds_write2_b64 v49, v[2:3], v[30:31] offset1:15
	v_fmac_f32_e32 v0, 0x3e9e377a, v34
	v_fmac_f32_e32 v1, 0x3e9e377a, v42
	v_add_f32_e32 v2, v51, v54
	v_add_f32_e32 v3, v47, v52
	v_sub_f32_e32 v30, v46, v47
	v_sub_f32_e32 v31, v53, v52
	ds_write_b64 v49, v[0:1] offset:480
	v_sub_f32_e32 v0, v48, v51
	v_sub_f32_e32 v1, v55, v54
	v_fma_f32 v2, -0.5, v2, v93
	v_fma_f32 v3, -0.5, v3, v94
	v_add_f32_e32 v36, v30, v31
	v_mul_u32_u24_e32 v30, 0x258, v32
	v_lshlrev_b32_e32 v31, 3, v33
	v_add_f32_e32 v34, v0, v1
	v_add_f32_e32 v0, v93, v48
	;; [unrolled: 1-line block ×3, first 2 shown]
	v_add3_u32 v32, 0, v30, v31
	v_sub_f32_e32 v33, v46, v53
	v_mov_b32_e32 v30, v2
	v_mov_b32_e32 v31, v3
	v_sub_f32_e32 v42, v48, v55
	v_add_f32_e32 v0, v0, v51
	v_add_f32_e32 v1, v1, v47
	v_fmac_f32_e32 v30, 0x3f737871, v33
	v_sub_f32_e32 v41, v47, v52
	v_fmac_f32_e32 v31, 0xbf737871, v42
	v_sub_f32_e32 v49, v51, v54
	v_add_f32_e32 v0, v0, v54
	v_add_f32_e32 v1, v1, v52
	v_fmac_f32_e32 v30, 0x3f167918, v41
	v_fmac_f32_e32 v31, 0xbf167918, v49
	v_add_f32_e32 v0, v0, v55
	v_add_f32_e32 v1, v1, v53
	v_fmac_f32_e32 v30, 0x3e9e377a, v34
	v_fmac_f32_e32 v31, 0x3e9e377a, v36
	ds_write2_b64 v32, v[0:1], v[30:31] offset1:15
	v_sub_f32_e32 v0, v51, v48
	v_add_f32_e32 v1, v48, v55
	v_sub_f32_e32 v30, v54, v55
	v_add_f32_e32 v31, v0, v30
	v_fma_f32 v0, -0.5, v1, v93
	v_mov_b32_e32 v30, v0
	v_fmac_f32_e32 v30, 0xbf737871, v41
	v_fmac_f32_e32 v0, 0x3f737871, v41
	;; [unrolled: 1-line block ×4, first 2 shown]
	v_add_f32_e32 v1, v46, v53
	v_fmac_f32_e32 v30, 0x3e9e377a, v31
	v_fmac_f32_e32 v0, 0x3e9e377a, v31
	v_fma_f32 v1, -0.5, v1, v94
	v_sub_f32_e32 v31, v47, v46
	v_sub_f32_e32 v46, v52, v53
	v_add_f32_e32 v46, v31, v46
	v_mov_b32_e32 v31, v1
	v_fmac_f32_e32 v31, 0x3f737871, v49
	v_fmac_f32_e32 v1, 0xbf737871, v49
	;; [unrolled: 1-line block ×10, first 2 shown]
	ds_write2_b64 v32, v[30:31], v[0:1] offset0:30 offset1:45
	v_fmac_f32_e32 v2, 0x3e9e377a, v34
	v_fmac_f32_e32 v3, 0x3e9e377a, v36
	v_add_f32_e32 v0, v39, v44
	v_add_f32_e32 v1, v38, v45
	ds_write_b64 v32, v[2:3] offset:480
	v_add_f32_e32 v30, v95, v38
	v_fma_f32 v0, -0.5, v0, v95
	v_fma_f32 v95, -0.5, v1, v95
	v_sub_f32_e32 v1, v39, v38
	v_sub_f32_e32 v2, v44, v45
	v_add_f32_e32 v1, v1, v2
	v_sub_f32_e32 v31, v37, v40
	v_mov_b32_e32 v2, v95
	v_fmac_f32_e32 v2, 0xbf737871, v31
	v_sub_f32_e32 v32, v35, v43
	v_fmac_f32_e32 v95, 0x3f737871, v31
	v_fmac_f32_e32 v2, 0x3f167918, v32
	v_fmac_f32_e32 v95, 0xbf167918, v32
	v_fmac_f32_e32 v2, 0x3e9e377a, v1
	v_fmac_f32_e32 v95, 0x3e9e377a, v1
	v_add_f32_e32 v1, v37, v40
	v_add_f32_e32 v3, v35, v43
	v_fma_f32 v1, -0.5, v1, v96
	v_add_f32_e32 v33, v96, v35
	v_fmac_f32_e32 v96, -0.5, v3
	v_sub_f32_e32 v3, v37, v35
	v_sub_f32_e32 v34, v40, v43
	v_add_f32_e32 v34, v3, v34
	v_mov_b32_e32 v3, v96
	v_sub_f32_e32 v36, v39, v44
	v_fmac_f32_e32 v3, 0x3f737871, v36
	v_sub_f32_e32 v41, v38, v45
	v_fmac_f32_e32 v96, 0xbf737871, v36
	v_fmac_f32_e32 v3, 0xbf167918, v41
	;; [unrolled: 1-line block ×3, first 2 shown]
	v_mul_u32_u24_e32 v12, 0x258, v12
	v_lshlrev_b32_e32 v13, 3, v13
	v_fmac_f32_e32 v3, 0x3e9e377a, v34
	v_fmac_f32_e32 v96, 0x3e9e377a, v34
	v_add3_u32 v34, 0, v12, v13
	ds_write2_b64 v34, v[2:3], v[95:96] offset0:30 offset1:45
	v_sub_f32_e32 v3, v38, v39
	v_sub_f32_e32 v12, v45, v44
	v_add_f32_e32 v2, v30, v39
	v_add_f32_e32 v30, v3, v12
	v_sub_f32_e32 v12, v35, v37
	v_sub_f32_e32 v13, v43, v40
	v_add_f32_e32 v3, v33, v37
	v_add_f32_e32 v33, v12, v13
	v_mov_b32_e32 v12, v0
	v_mov_b32_e32 v13, v1
	v_fmac_f32_e32 v0, 0xbf737871, v32
	v_fmac_f32_e32 v1, 0x3f737871, v41
	v_fmac_f32_e32 v0, 0xbf167918, v31
	v_fmac_f32_e32 v1, 0x3f167918, v36
	v_fmac_f32_e32 v12, 0x3f737871, v32
	v_fmac_f32_e32 v13, 0xbf737871, v41
	v_fmac_f32_e32 v0, 0x3e9e377a, v30
	v_fmac_f32_e32 v1, 0x3e9e377a, v33
	s_movk_i32 s5, 0x4b
	v_add_f32_e32 v2, v2, v44
	v_add_f32_e32 v3, v3, v40
	v_fmac_f32_e32 v12, 0x3f167918, v31
	v_fmac_f32_e32 v13, 0xbf167918, v36
	ds_write_b64 v34, v[0:1] offset:480
	v_add_u32_e32 v0, 0xffffffb5, v8
	v_cmp_gt_u32_e32 vcc, s5, v8
	v_add_f32_e32 v2, v2, v45
	v_add_f32_e32 v3, v3, v43
	v_fmac_f32_e32 v12, 0x3e9e377a, v30
	v_fmac_f32_e32 v13, 0x3e9e377a, v33
	v_cndmask_b32_e32 v52, v0, v8, vcc
	ds_write2_b64 v34, v[2:3], v[12:13] offset1:15
	v_mul_i32_i24_e32 v12, 9, v52
	v_mov_b32_e32 v13, 0
	v_lshlrev_b64 v[0:1], 3, v[12:13]
	s_movk_i32 s5, 0xdb
	v_mul_lo_u16_sdwa v12, v6, s5 dst_sel:DWORD dst_unused:UNUSED_PAD src0_sel:BYTE_0 src1_sel:DWORD
	v_mov_b32_e32 v30, s9
	v_add_co_u32_e32 v50, vcc, s8, v0
	v_lshrrev_b16_e32 v32, 14, v12
	v_addc_co_u32_e32 v51, vcc, v30, v1, vcc
	v_mul_lo_u16_e32 v12, 0x4b, v32
	s_waitcnt lgkmcnt(0)
	s_barrier
	global_load_dwordx4 v[0:3], v[50:51], off offset:592
	v_sub_u16_e32 v33, v6, v12
	v_mov_b32_e32 v12, 9
	v_mul_u32_u24_sdwa v12, v33, v12 dst_sel:DWORD dst_unused:UNUSED_PAD src0_sel:BYTE_0 src1_sel:DWORD
	v_lshlrev_b32_e32 v61, 3, v12
	global_load_dwordx4 v[34:37], v61, s[8:9] offset:592
	s_mov_b32 s5, 0xb4e9
	v_mul_u32_u24_sdwa v12, v7, s5 dst_sel:DWORD dst_unused:UNUSED_PAD src0_sel:WORD_0 src1_sel:DWORD
	v_sub_u16_sdwa v31, v7, v12 dst_sel:DWORD dst_unused:UNUSED_PAD src0_sel:DWORD src1_sel:WORD_1
	v_lshrrev_b16_e32 v31, 1, v31
	v_add_u16_sdwa v12, v31, v12 dst_sel:DWORD dst_unused:UNUSED_PAD src0_sel:DWORD src1_sel:WORD_1
	v_lshrrev_b16_e32 v12, 6, v12
	v_mul_lo_u16_e32 v31, 0x4b, v12
	v_sub_u16_e32 v31, v7, v31
	v_mul_u32_u24_e32 v38, 9, v31
	v_lshlrev_b32_e32 v59, 3, v38
	global_load_dwordx4 v[38:41], v59, s[8:9] offset:592
	global_load_dwordx4 v[42:45], v[50:51], off offset:608
	global_load_dwordx4 v[46:49], v61, s[8:9] offset:608
	global_load_dwordx4 v[63:66], v59, s[8:9] offset:608
	global_load_dwordx4 v[67:70], v[50:51], off offset:624
	global_load_dwordx4 v[84:87], v61, s[8:9] offset:624
	global_load_dwordx4 v[88:91], v59, s[8:9] offset:624
	;; [unrolled: 1-line block ×3, first 2 shown]
	v_add_u32_e32 v53, 0x2000, v16
	ds_read2_b32 v[53:54], v53 offset0:202 offset1:203
	ds_read2_b64 v[55:58], v26 offset0:92 offset1:217
	global_load_dwordx4 v[92:95], v[50:51], off offset:576
	global_load_dwordx2 v[100:101], v[50:51], off offset:640
	global_load_dwordx2 v[102:103], v61, s[8:9] offset:640
	global_load_dwordx2 v[104:105], v59, s[8:9] offset:640
	ds_read2_b64 v[79:82], v29 offset0:74 offset1:199
	s_mov_b32 s5, 0xbf167918
	v_cmp_lt_u32_e32 vcc, s7, v8
	v_lshlrev_b32_e32 v52, 3, v52
	s_mov_b32 s7, 0xbf737871
	s_waitcnt vmcnt(13) lgkmcnt(2)
	v_mul_f32_e32 v60, v54, v1
	v_mul_f32_e32 v71, v1, v53
	v_fma_f32 v72, v0, v53, -v60
	v_fmac_f32_e32 v71, v54, v0
	s_waitcnt lgkmcnt(1)
	v_mul_f32_e32 v0, v56, v3
	v_mul_f32_e32 v73, v55, v3
	v_fma_f32 v74, v55, v2, -v0
	v_fmac_f32_e32 v73, v56, v2
	ds_read2_b64 v[0:3], v9 offset0:98 offset1:223
	s_waitcnt vmcnt(12)
	v_mul_f32_e32 v50, v58, v37
	v_mul_f32_e32 v55, v57, v37
	v_fma_f32 v56, v57, v36, -v50
	v_fmac_f32_e32 v55, v58, v36
	ds_read2_b64 v[57:60], v24 offset0:86 offset1:211
	s_waitcnt lgkmcnt(1)
	v_mul_f32_e32 v36, v1, v35
	v_fma_f32 v54, v0, v34, -v36
	v_mul_f32_e32 v53, v0, v35
	s_waitcnt vmcnt(11)
	v_mul_f32_e32 v0, v3, v39
	v_fmac_f32_e32 v53, v1, v34
	v_fma_f32 v35, v2, v38, -v0
	v_mul_f32_e32 v34, v2, v39
	s_waitcnt lgkmcnt(0)
	v_mul_f32_e32 v0, v58, v41
	v_fmac_f32_e32 v34, v3, v38
	v_fma_f32 v39, v57, v40, -v0
	global_load_dwordx4 v[0:3], v61, s[8:9] offset:576
	v_mul_f32_e32 v36, v57, v41
	s_waitcnt vmcnt(11)
	v_mul_f32_e32 v37, v60, v43
	v_mul_f32_e32 v75, v59, v43
	v_fmac_f32_e32 v36, v58, v40
	v_fma_f32 v76, v59, v42, -v37
	v_fmac_f32_e32 v75, v60, v42
	ds_read2_b64 v[40:43], v19 offset0:80 offset1:205
	v_mul_f32_e32 v37, v80, v45
	v_fma_f32 v78, v79, v44, -v37
	s_waitcnt vmcnt(10)
	v_mul_f32_e32 v37, v82, v49
	v_mul_f32_e32 v77, v79, v45
	v_fma_f32 v62, v81, v48, -v37
	s_waitcnt lgkmcnt(0)
	v_mul_f32_e32 v37, v41, v47
	v_mul_f32_e32 v57, v40, v47
	v_fmac_f32_e32 v77, v80, v44
	v_fma_f32 v60, v40, v46, -v37
	v_fmac_f32_e32 v57, v41, v46
	ds_read2_b64 v[44:47], v20 offset0:68 offset1:193
	v_mul_f32_e32 v61, v81, v49
	s_waitcnt vmcnt(9)
	v_mul_f32_e32 v37, v43, v64
	v_fmac_f32_e32 v61, v82, v48
	v_fma_f32 v41, v42, v63, -v37
	v_mul_f32_e32 v40, v42, v64
	s_waitcnt lgkmcnt(0)
	v_mul_f32_e32 v37, v45, v66
	ds_read2_b64 v[48:51], v27 offset0:56 offset1:181
	v_fmac_f32_e32 v40, v43, v63
	v_fma_f32 v43, v44, v65, -v37
	v_mul_f32_e32 v42, v44, v66
	s_waitcnt vmcnt(8)
	v_mul_f32_e32 v37, v47, v68
	v_mul_f32_e32 v79, v46, v68
	v_fmac_f32_e32 v42, v45, v65
	v_fma_f32 v81, v46, v67, -v37
	v_fmac_f32_e32 v79, v47, v67
	ds_read2_b64 v[44:47], v17 offset0:62 offset1:187
	s_waitcnt lgkmcnt(1)
	v_mul_f32_e32 v37, v49, v70
	v_fma_f32 v83, v48, v69, -v37
	s_waitcnt vmcnt(7)
	v_mul_f32_e32 v37, v51, v87
	v_fma_f32 v67, v50, v86, -v37
	v_mul_f32_e32 v65, v50, v87
	s_waitcnt lgkmcnt(0)
	v_mul_f32_e32 v37, v45, v85
	v_mul_f32_e32 v63, v44, v85
	v_fmac_f32_e32 v65, v51, v86
	v_fma_f32 v64, v44, v84, -v37
	v_fmac_f32_e32 v63, v45, v84
	ds_read2_b64 v[84:87], v23 offset0:50 offset1:175
	s_waitcnt vmcnt(6)
	v_mul_f32_e32 v37, v47, v89
	v_mul_f32_e32 v44, v46, v89
	;; [unrolled: 1-line block ×3, first 2 shown]
	v_fma_f32 v45, v46, v88, -v37
	v_fmac_f32_e32 v44, v47, v88
	s_waitcnt lgkmcnt(0)
	v_mul_f32_e32 v37, v85, v91
	v_mul_f32_e32 v47, v84, v91
	v_fmac_f32_e32 v82, v49, v69
	v_fma_f32 v49, v84, v90, -v37
	v_fmac_f32_e32 v47, v85, v90
	ds_read2_b64 v[88:91], v18 offset0:44 offset1:169
	s_waitcnt vmcnt(3)
	v_mul_f32_e32 v37, v87, v101
	v_fma_f32 v85, v86, v100, -v37
	v_mul_f32_e32 v84, v86, v101
	v_fmac_f32_e32 v84, v87, v100
	s_waitcnt vmcnt(2) lgkmcnt(0)
	v_mul_f32_e32 v37, v89, v103
	v_fma_f32 v68, v88, v102, -v37
	ds_read_b64 v[37:38], v16 offset:8000
	v_mul_f32_e32 v66, v88, v103
	v_fmac_f32_e32 v66, v89, v102
	ds_read2_b64 v[86:89], v21 offset0:116 offset1:241
	s_waitcnt vmcnt(1)
	v_mul_f32_e32 v46, v91, v105
	s_waitcnt lgkmcnt(1)
	v_mul_f32_e32 v50, v38, v99
	v_fma_f32 v51, v37, v98, -v50
	v_mul_f32_e32 v50, v37, v99
	v_fma_f32 v48, v90, v104, -v46
	v_mul_f32_e32 v46, v90, v105
	v_fmac_f32_e32 v50, v38, v98
	s_waitcnt lgkmcnt(0)
	v_mul_f32_e32 v37, v89, v97
	v_mul_f32_e32 v38, v88, v97
	v_fmac_f32_e32 v46, v91, v104
	v_fma_f32 v37, v88, v96, -v37
	v_fmac_f32_e32 v38, v89, v96
	ds_read2_b64 v[88:91], v28 offset0:110 offset1:235
	s_waitcnt vmcnt(0)
	v_mul_f32_e32 v58, v87, v1
	v_mul_f32_e32 v59, v86, v1
	v_fma_f32 v58, v86, v0, -v58
	v_fmac_f32_e32 v59, v87, v0
	s_waitcnt lgkmcnt(0)
	v_mul_f32_e32 v0, v91, v3
	v_mul_f32_e32 v69, v90, v3
	v_fma_f32 v70, v90, v2, -v0
	v_fmac_f32_e32 v69, v91, v2
	ds_read2_b64 v[0:3], v22 offset0:122 offset1:247
	v_mul_f32_e32 v80, v95, v89
	v_fma_f32 v87, v94, v88, -v80
	v_mul_f32_e32 v86, v95, v88
	v_fmac_f32_e32 v86, v94, v89
	s_waitcnt lgkmcnt(0)
	v_mul_f32_e32 v80, v93, v3
	v_fma_f32 v80, v92, v2, -v80
	v_mul_f32_e32 v2, v93, v2
	v_fmac_f32_e32 v2, v92, v3
	v_sub_f32_e32 v3, v87, v74
	v_sub_f32_e32 v88, v83, v78
	v_add_f32_e32 v3, v3, v88
	v_sub_f32_e32 v88, v86, v73
	v_sub_f32_e32 v89, v82, v77
	v_add_f32_e32 v88, v88, v89
	;; [unrolled: 3-line block ×4, first 2 shown]
	v_add_f32_e32 v89, v76, v81
	v_fma_f32 v95, -0.5, v89, v80
	v_sub_f32_e32 v89, v71, v84
	v_add_f32_e32 v91, v75, v79
	v_mov_b32_e32 v96, v95
	v_fmac_f32_e32 v95, 0xbf737871, v89
	v_sub_f32_e32 v90, v75, v79
	v_fma_f32 v99, -0.5, v91, v2
	v_sub_f32_e32 v91, v72, v85
	v_fmac_f32_e32 v95, 0xbf167918, v90
	v_mov_b32_e32 v98, v99
	v_fmac_f32_e32 v99, 0x3f737871, v91
	v_sub_f32_e32 v92, v76, v81
	v_fmac_f32_e32 v95, 0x3e9e377a, v93
	v_fmac_f32_e32 v99, 0x3f167918, v92
	;; [unrolled: 1-line block ×3, first 2 shown]
	v_mul_f32_e32 v94, 0x3f4f1bbd, v95
	v_fma_f32 v94, v99, s6, -v94
	v_mul_f32_e32 v99, 0x3f4f1bbd, v99
	v_fma_f32 v95, v95, s5, -v99
	ds_read2_b64 v[99:102], v16 offset1:125
	v_mov_b32_e32 v103, 0x1770
	v_cndmask_b32_e32 v103, 0, v103, vcc
	v_add3_u32 v52, 0, v103, v52
	v_sub_f32_e32 v111, v73, v77
	s_waitcnt lgkmcnt(0)
	v_add_f32_e32 v103, v99, v87
	v_add_f32_e32 v103, v103, v74
	;; [unrolled: 1-line block ×5, first 2 shown]
	v_fma_f32 v108, -0.5, v103, v99
	v_add_f32_e32 v103, v100, v86
	v_add_f32_e32 v103, v103, v73
	v_add_f32_e32 v103, v103, v77
	v_add_f32_e32 v112, v103, v82
	v_add_f32_e32 v103, v73, v77
	v_fma_f32 v113, -0.5, v103, v100
	v_add_f32_e32 v103, v80, v72
	v_sub_f32_e32 v73, v73, v86
	v_sub_f32_e32 v77, v77, v82
	v_sub_f32_e32 v109, v86, v82
	v_mov_b32_e32 v110, v108
	v_add_f32_e32 v103, v103, v76
	v_add_f32_e32 v77, v73, v77
	v_add_f32_e32 v73, v72, v85
	v_fmac_f32_e32 v108, 0xbf737871, v109
	v_add_f32_e32 v103, v103, v81
	v_fmac_f32_e32 v110, 0x3f737871, v109
	v_fmac_f32_e32 v80, -0.5, v73
	v_sub_f32_e32 v72, v76, v72
	v_sub_f32_e32 v73, v81, v85
	v_fmac_f32_e32 v108, 0xbf167918, v111
	v_add_f32_e32 v117, v103, v85
	v_add_f32_e32 v103, v2, v71
	v_fmac_f32_e32 v110, 0x3f167918, v111
	v_add_f32_e32 v76, v72, v73
	v_add_f32_e32 v72, v71, v84
	v_fmac_f32_e32 v108, 0x3e9e377a, v3
	v_sub_f32_e32 v116, v74, v78
	v_add_f32_e32 v103, v103, v75
	v_fmac_f32_e32 v110, 0x3e9e377a, v3
	v_sub_f32_e32 v3, v74, v87
	v_sub_f32_e32 v78, v78, v83
	v_fmac_f32_e32 v2, -0.5, v72
	v_sub_f32_e32 v71, v75, v71
	v_sub_f32_e32 v72, v79, v84
	v_add_f32_e32 v103, v103, v79
	v_add_f32_e32 v74, v87, v83
	;; [unrolled: 1-line block ×5, first 2 shown]
	v_mov_b32_e32 v71, v80
	v_mov_b32_e32 v72, v2
	v_add_f32_e32 v118, v103, v84
	v_fmac_f32_e32 v96, 0x3f737871, v89
	v_fmac_f32_e32 v98, 0xbf737871, v91
	;; [unrolled: 1-line block ×4, first 2 shown]
	v_fma_f32 v84, -0.5, v74, v99
	v_fma_f32 v78, -0.5, v78, v100
	v_sub_f32_e32 v114, v87, v83
	v_mov_b32_e32 v115, v113
	v_fmac_f32_e32 v96, 0x3f167918, v90
	v_fmac_f32_e32 v98, 0xbf167918, v92
	;; [unrolled: 1-line block ×4, first 2 shown]
	v_mov_b32_e32 v85, v84
	v_mov_b32_e32 v86, v78
	v_fmac_f32_e32 v115, 0xbf737871, v114
	v_fmac_f32_e32 v96, 0x3e9e377a, v93
	;; [unrolled: 1-line block ×8, first 2 shown]
	v_mul_f32_e32 v79, 0x3f167918, v98
	v_mul_f32_e32 v81, 0xbf167918, v96
	;; [unrolled: 1-line block ×4, first 2 shown]
	v_fmac_f32_e32 v85, 0x3f167918, v109
	v_fmac_f32_e32 v86, 0xbf167918, v114
	;; [unrolled: 1-line block ×13, first 2 shown]
	v_sub_f32_e32 v71, v110, v79
	v_sub_f32_e32 v72, v115, v81
	;; [unrolled: 1-line block ×4, first 2 shown]
	v_add_u32_e32 v87, 0xc00, v52
	v_fmac_f32_e32 v84, 0xbf167918, v109
	v_fmac_f32_e32 v80, 0x3e9e377a, v76
	;; [unrolled: 1-line block ×3, first 2 shown]
	s_barrier
	ds_write2_b64 v87, v[71:72], v[73:74] offset0:66 offset1:141
	v_add_f32_e32 v71, v107, v117
	v_add_f32_e32 v72, v112, v118
	;; [unrolled: 1-line block ×4, first 2 shown]
	v_fmac_f32_e32 v84, 0x3e9e377a, v3
	v_fmac_f32_e32 v78, 0xbf737871, v116
	v_fmac_f32_e32 v2, 0x3e9e377a, v75
	s_mov_b32 s9, 0x3f737871
	v_mul_f32_e32 v3, 0x3e9e377a, v80
	v_fmac_f32_e32 v113, 0x3f737871, v114
	ds_write2_b64 v52, v[71:72], v[73:74] offset1:75
	v_fmac_f32_e32 v78, 0x3f167918, v114
	v_fma_f32 v73, v2, s9, -v3
	v_mul_f32_e32 v2, 0x3e9e377a, v2
	v_fmac_f32_e32 v113, 0x3f167918, v116
	v_fmac_f32_e32 v78, 0x3e9e377a, v77
	v_fma_f32 v74, v80, s7, -v2
	v_fmac_f32_e32 v113, 0x3e9e377a, v88
	v_add_f32_e32 v71, v85, v82
	v_add_f32_e32 v72, v86, v83
	;; [unrolled: 1-line block ×4, first 2 shown]
	v_add_u32_e32 v119, 0x800, v52
	ds_write2_b64 v52, v[71:72], v[2:3] offset0:150 offset1:225
	v_sub_f32_e32 v2, v84, v73
	v_sub_f32_e32 v3, v78, v74
	;; [unrolled: 1-line block ×4, first 2 shown]
	v_add_u32_e32 v52, 0x1000, v52
	ds_write2_b64 v52, v[2:3], v[71:72] offset0:88 offset1:163
	v_sub_f32_e32 v2, v70, v56
	v_sub_f32_e32 v3, v67, v62
	v_add_f32_e32 v52, v2, v3
	v_sub_f32_e32 v2, v69, v55
	v_sub_f32_e32 v3, v65, v61
	v_add_f32_e32 v71, v2, v3
	;; [unrolled: 3-line block ×4, first 2 shown]
	v_add_f32_e32 v2, v60, v64
	v_fma_f32 v2, -0.5, v2, v58
	v_sub_f32_e32 v74, v53, v66
	v_add_f32_e32 v3, v57, v63
	v_mov_b32_e32 v75, v2
	v_fmac_f32_e32 v2, 0xbf737871, v74
	v_sub_f32_e32 v76, v57, v63
	v_fma_f32 v3, -0.5, v3, v59
	v_sub_f32_e32 v77, v54, v68
	v_fmac_f32_e32 v2, 0xbf167918, v76
	v_mov_b32_e32 v78, v3
	v_fmac_f32_e32 v3, 0x3f737871, v77
	v_sub_f32_e32 v79, v60, v64
	v_fmac_f32_e32 v2, 0x3e9e377a, v72
	v_fmac_f32_e32 v3, 0x3f167918, v79
	;; [unrolled: 1-line block ×3, first 2 shown]
	v_mul_f32_e32 v80, 0x3f4f1bbd, v2
	v_fma_f32 v80, v3, s6, -v80
	v_mul_f32_e32 v3, 0x3f4f1bbd, v3
	v_fma_f32 v81, v2, s5, -v3
	v_lshlrev_b32_sdwa v2, v15, v33 dst_sel:DWORD dst_unused:UNUSED_PAD src0_sel:DWORD src1_sel:BYTE_0
	v_mul_u32_u24_e32 v3, 0x1770, v32
	v_add3_u32 v15, 0, v3, v2
	v_add_f32_e32 v2, v101, v70
	v_add_f32_e32 v2, v2, v56
	;; [unrolled: 1-line block ×5, first 2 shown]
	v_fma_f32 v83, -0.5, v2, v101
	v_add_f32_e32 v2, v102, v69
	v_add_f32_e32 v2, v2, v55
	;; [unrolled: 1-line block ×5, first 2 shown]
	v_fma_f32 v88, -0.5, v2, v102
	v_add_f32_e32 v2, v58, v54
	v_add_f32_e32 v2, v2, v60
	;; [unrolled: 1-line block ×3, first 2 shown]
	v_sub_f32_e32 v84, v69, v65
	v_sub_f32_e32 v89, v70, v67
	v_add_f32_e32 v92, v2, v68
	v_add_f32_e32 v2, v59, v53
	v_mov_b32_e32 v85, v83
	v_fmac_f32_e32 v83, 0xbf737871, v84
	v_sub_f32_e32 v86, v55, v61
	v_mov_b32_e32 v90, v88
	v_fmac_f32_e32 v88, 0x3f737871, v89
	v_sub_f32_e32 v91, v56, v62
	v_add_f32_e32 v2, v2, v57
	v_fmac_f32_e32 v83, 0xbf167918, v86
	v_fmac_f32_e32 v88, 0x3f167918, v91
	v_add_f32_e32 v2, v2, v63
	v_fmac_f32_e32 v83, 0x3e9e377a, v52
	v_fmac_f32_e32 v88, 0x3e9e377a, v71
	v_add_f32_e32 v93, v2, v66
	v_add_f32_e32 v103, v108, v94
	;; [unrolled: 1-line block ×3, first 2 shown]
	v_sub_f32_e32 v105, v107, v117
	v_sub_f32_e32 v106, v112, v118
	v_add_f32_e32 v2, v83, v80
	v_add_f32_e32 v3, v88, v81
	v_sub_f32_e32 v32, v82, v92
	v_sub_f32_e32 v33, v87, v93
	v_add_u32_e32 v94, 0x800, v15
	v_fmac_f32_e32 v85, 0x3f737871, v84
	ds_write2_b64 v119, v[103:104], v[105:106] offset0:44 offset1:119
	ds_write2_b64 v94, v[2:3], v[32:33] offset0:44 offset1:119
	v_fmac_f32_e32 v85, 0x3f167918, v86
	v_sub_f32_e32 v2, v56, v70
	v_sub_f32_e32 v32, v62, v67
	v_fmac_f32_e32 v85, 0x3e9e377a, v52
	v_add_f32_e32 v52, v2, v32
	v_add_f32_e32 v2, v69, v65
	v_fmac_f32_e32 v102, -0.5, v2
	v_sub_f32_e32 v2, v55, v69
	v_sub_f32_e32 v32, v61, v65
	v_add_f32_e32 v55, v2, v32
	v_add_f32_e32 v2, v54, v68
	v_fmac_f32_e32 v58, -0.5, v2
	v_sub_f32_e32 v2, v60, v54
	v_sub_f32_e32 v32, v64, v68
	;; [unrolled: 5-line block ×3, first 2 shown]
	v_add_f32_e32 v3, v70, v67
	v_add_f32_e32 v53, v2, v32
	v_mov_b32_e32 v2, v58
	v_mov_b32_e32 v32, v59
	v_fmac_f32_e32 v75, 0x3f737871, v74
	v_fmac_f32_e32 v78, 0xbf737871, v77
	;; [unrolled: 1-line block ×4, first 2 shown]
	v_fma_f32 v62, -0.5, v3, v101
	v_fmac_f32_e32 v75, 0x3f167918, v76
	v_fmac_f32_e32 v78, 0xbf167918, v79
	v_fmac_f32_e32 v2, 0x3f167918, v74
	v_fmac_f32_e32 v32, 0xbf167918, v77
	v_mov_b32_e32 v63, v62
	v_mov_b32_e32 v64, v102
	v_fmac_f32_e32 v90, 0xbf737871, v89
	v_fmac_f32_e32 v75, 0x3e9e377a, v72
	v_fmac_f32_e32 v78, 0x3e9e377a, v73
	v_fmac_f32_e32 v2, 0x3e9e377a, v54
	v_fmac_f32_e32 v32, 0x3e9e377a, v53
	v_fmac_f32_e32 v63, 0xbf737871, v86
	v_fmac_f32_e32 v64, 0x3f737871, v91
	v_fmac_f32_e32 v90, 0xbf167918, v91
	v_mul_f32_e32 v56, 0x3f167918, v78
	v_mul_f32_e32 v57, 0xbf167918, v75
	;; [unrolled: 1-line block ×4, first 2 shown]
	v_fmac_f32_e32 v63, 0x3f167918, v84
	v_fmac_f32_e32 v64, 0xbf167918, v89
	;; [unrolled: 1-line block ×10, first 2 shown]
	v_sub_f32_e32 v2, v85, v56
	v_sub_f32_e32 v3, v90, v57
	;; [unrolled: 1-line block ×4, first 2 shown]
	v_add_u32_e32 v65, 0xc00, v15
	v_fmac_f32_e32 v58, 0xbf167918, v74
	v_fmac_f32_e32 v59, 0xbf737871, v79
	ds_write2_b64 v65, v[2:3], v[32:33] offset0:66 offset1:141
	v_add_f32_e32 v2, v82, v92
	v_add_f32_e32 v3, v87, v93
	;; [unrolled: 1-line block ×4, first 2 shown]
	v_fmac_f32_e32 v62, 0x3f737871, v86
	v_fmac_f32_e32 v58, 0x3e9e377a, v54
	;; [unrolled: 1-line block ×3, first 2 shown]
	ds_write2_b64 v15, v[2:3], v[32:33] offset1:75
	v_fmac_f32_e32 v62, 0xbf167918, v84
	v_fmac_f32_e32 v102, 0xbf737871, v91
	;; [unrolled: 1-line block ×3, first 2 shown]
	v_mul_f32_e32 v32, 0x3e9e377a, v58
	v_fmac_f32_e32 v62, 0x3e9e377a, v52
	v_fmac_f32_e32 v102, 0x3f167918, v89
	v_fma_f32 v52, v59, s9, -v32
	v_mul_f32_e32 v32, 0x3e9e377a, v59
	v_fmac_f32_e32 v102, 0x3e9e377a, v55
	v_fma_f32 v53, v58, s7, -v32
	v_add_f32_e32 v2, v63, v60
	v_add_f32_e32 v3, v64, v61
	;; [unrolled: 1-line block ×4, first 2 shown]
	ds_write2_b64 v15, v[2:3], v[32:33] offset0:150 offset1:225
	v_sub_f32_e32 v3, v102, v53
	v_sub_f32_e32 v2, v62, v52
	;; [unrolled: 1-line block ×4, first 2 shown]
	v_add_u32_e32 v15, 0x1000, v15
	ds_write2_b64 v15, v[2:3], v[32:33] offset0:88 offset1:163
	v_sub_f32_e32 v2, v51, v39
	v_sub_f32_e32 v3, v49, v43
	v_add_f32_e32 v15, v2, v3
	v_sub_f32_e32 v2, v50, v36
	v_sub_f32_e32 v3, v47, v42
	v_add_f32_e32 v33, v2, v3
	;; [unrolled: 3-line block ×4, first 2 shown]
	v_add_f32_e32 v2, v41, v45
	v_fma_f32 v2, -0.5, v2, v37
	v_sub_f32_e32 v54, v34, v46
	v_add_f32_e32 v3, v40, v44
	v_mov_b32_e32 v55, v2
	v_fmac_f32_e32 v2, 0xbf737871, v54
	v_sub_f32_e32 v56, v40, v44
	v_fma_f32 v3, -0.5, v3, v38
	v_sub_f32_e32 v57, v35, v48
	v_fmac_f32_e32 v2, 0xbf167918, v56
	v_mov_b32_e32 v58, v3
	v_fmac_f32_e32 v3, 0x3f737871, v57
	v_sub_f32_e32 v59, v41, v45
	v_fmac_f32_e32 v2, 0x3e9e377a, v52
	v_fmac_f32_e32 v3, 0x3f167918, v59
	;; [unrolled: 1-line block ×3, first 2 shown]
	v_mul_f32_e32 v32, 0x3f4f1bbd, v2
	v_fma_f32 v60, v3, s6, -v32
	v_mul_f32_e32 v3, 0x3f4f1bbd, v3
	v_fma_f32 v61, v2, s5, -v3
	v_mul_u32_u24_e32 v2, 0x1770, v12
	v_lshlrev_b32_e32 v3, 3, v31
	v_add3_u32 v12, 0, v2, v3
	v_add_f32_e32 v2, v0, v51
	v_add_f32_e32 v2, v2, v39
	;; [unrolled: 1-line block ×5, first 2 shown]
	v_fma_f32 v63, -0.5, v2, v0
	v_add_f32_e32 v2, v1, v50
	v_add_f32_e32 v2, v2, v36
	;; [unrolled: 1-line block ×5, first 2 shown]
	v_fma_f32 v68, -0.5, v2, v1
	v_add_f32_e32 v2, v37, v35
	v_add_f32_e32 v2, v2, v41
	;; [unrolled: 1-line block ×3, first 2 shown]
	v_sub_f32_e32 v64, v50, v47
	v_sub_f32_e32 v69, v51, v49
	v_add_f32_e32 v72, v2, v48
	v_add_f32_e32 v2, v38, v34
	v_mov_b32_e32 v65, v63
	v_fmac_f32_e32 v63, 0xbf737871, v64
	v_sub_f32_e32 v66, v36, v42
	v_mov_b32_e32 v70, v68
	v_fmac_f32_e32 v68, 0x3f737871, v69
	v_sub_f32_e32 v71, v39, v43
	v_add_f32_e32 v2, v2, v40
	v_fmac_f32_e32 v63, 0xbf167918, v66
	v_fmac_f32_e32 v68, 0x3f167918, v71
	v_add_f32_e32 v2, v2, v44
	v_fmac_f32_e32 v63, 0x3e9e377a, v15
	v_fmac_f32_e32 v68, 0x3e9e377a, v33
	v_add_f32_e32 v73, v2, v46
	v_fmac_f32_e32 v65, 0x3f737871, v64
	v_add_f32_e32 v2, v63, v60
	v_add_f32_e32 v3, v68, v61
	v_sub_f32_e32 v31, v62, v72
	v_sub_f32_e32 v32, v67, v73
	v_add_u32_e32 v74, 0x800, v12
	v_fmac_f32_e32 v65, 0x3f167918, v66
	ds_write2_b64 v74, v[2:3], v[31:32] offset0:44 offset1:119
	v_fmac_f32_e32 v65, 0x3e9e377a, v15
	v_sub_f32_e32 v2, v39, v51
	v_sub_f32_e32 v15, v43, v49
	v_add_f32_e32 v15, v2, v15
	v_fmac_f32_e32 v70, 0xbf737871, v69
	v_add_f32_e32 v2, v50, v47
	v_fmac_f32_e32 v70, 0xbf167918, v71
	v_fmac_f32_e32 v1, -0.5, v2
	v_sub_f32_e32 v2, v36, v50
	v_sub_f32_e32 v31, v42, v47
	v_fmac_f32_e32 v70, 0x3e9e377a, v33
	v_add_f32_e32 v33, v2, v31
	v_add_f32_e32 v2, v35, v48
	v_fmac_f32_e32 v37, -0.5, v2
	v_sub_f32_e32 v2, v41, v35
	v_sub_f32_e32 v31, v45, v48
	v_add_f32_e32 v35, v2, v31
	v_add_f32_e32 v2, v34, v46
	v_fmac_f32_e32 v38, -0.5, v2
	v_sub_f32_e32 v2, v40, v34
	v_sub_f32_e32 v31, v44, v46
	v_add_f32_e32 v3, v51, v49
	v_add_f32_e32 v34, v2, v31
	v_mov_b32_e32 v2, v37
	v_mov_b32_e32 v31, v38
	v_fmac_f32_e32 v55, 0x3f737871, v54
	v_fmac_f32_e32 v58, 0xbf737871, v57
	;; [unrolled: 1-line block ×4, first 2 shown]
	v_fma_f32 v0, -0.5, v3, v0
	v_fmac_f32_e32 v55, 0x3f167918, v56
	v_fmac_f32_e32 v58, 0xbf167918, v59
	;; [unrolled: 1-line block ×4, first 2 shown]
	v_mov_b32_e32 v42, v0
	v_mov_b32_e32 v43, v1
	v_fmac_f32_e32 v55, 0x3e9e377a, v52
	v_fmac_f32_e32 v58, 0x3e9e377a, v53
	;; [unrolled: 1-line block ×6, first 2 shown]
	v_mul_f32_e32 v36, 0x3f167918, v58
	v_mul_f32_e32 v39, 0xbf167918, v55
	;; [unrolled: 1-line block ×4, first 2 shown]
	v_fmac_f32_e32 v42, 0x3f167918, v64
	v_fmac_f32_e32 v43, 0xbf167918, v69
	;; [unrolled: 1-line block ×10, first 2 shown]
	v_sub_f32_e32 v2, v65, v36
	v_sub_f32_e32 v3, v70, v39
	;; [unrolled: 1-line block ×4, first 2 shown]
	v_add_u32_e32 v44, 0xc00, v12
	v_fmac_f32_e32 v0, 0x3f737871, v66
	v_fmac_f32_e32 v37, 0xbf167918, v54
	;; [unrolled: 1-line block ×3, first 2 shown]
	ds_write2_b64 v44, v[2:3], v[31:32] offset0:66 offset1:141
	v_add_f32_e32 v2, v62, v72
	v_add_f32_e32 v3, v67, v73
	;; [unrolled: 1-line block ×4, first 2 shown]
	v_fmac_f32_e32 v0, 0xbf167918, v64
	v_fmac_f32_e32 v1, 0xbf737871, v71
	;; [unrolled: 1-line block ×4, first 2 shown]
	ds_write2_b64 v12, v[2:3], v[31:32] offset1:75
	v_fmac_f32_e32 v0, 0x3e9e377a, v15
	v_fmac_f32_e32 v1, 0x3f167918, v69
	v_mul_f32_e32 v15, 0x3e9e377a, v37
	v_mul_f32_e32 v31, 0x3e9e377a, v38
	v_fmac_f32_e32 v1, 0x3e9e377a, v33
	v_fma_f32 v15, v38, s9, -v15
	v_fma_f32 v33, v37, s7, -v31
	v_add_f32_e32 v2, v42, v40
	v_add_f32_e32 v3, v43, v41
	;; [unrolled: 1-line block ×4, first 2 shown]
	ds_write2_b64 v12, v[2:3], v[31:32] offset0:150 offset1:225
	v_sub_f32_e32 v1, v1, v33
	v_sub_f32_e32 v0, v0, v15
	;; [unrolled: 1-line block ×4, first 2 shown]
	v_add_u32_e32 v12, 0x1000, v12
	ds_write2_b64 v12, v[0:1], v[2:3] offset0:88 offset1:163
	v_lshlrev_b32_e32 v12, 2, v8
	v_lshlrev_b64 v[0:1], 3, v[12:13]
	v_lshlrev_b32_e32 v12, 2, v6
	v_add_co_u32_e32 v15, vcc, s8, v0
	v_addc_co_u32_e32 v36, vcc, v30, v1, vcc
	v_add_co_u32_e32 v0, vcc, s4, v15
	v_lshlrev_b64 v[31:32], 3, v[12:13]
	v_addc_co_u32_e32 v1, vcc, 0, v36, vcc
	v_add_co_u32_e32 v6, vcc, s8, v31
	v_addc_co_u32_e32 v12, vcc, v30, v32, vcc
	s_waitcnt lgkmcnt(0)
	s_barrier
	global_load_dwordx4 v[0:3], v[0:1], off offset:1880
	v_add_co_u32_e32 v31, vcc, s4, v6
	v_addc_co_u32_e32 v32, vcc, 0, v12, vcc
	global_load_dwordx4 v[31:34], v[31:32], off offset:1880
	s_movk_i32 s5, 0x1758
	v_add_co_u32_e32 v35, vcc, s5, v15
	v_addc_co_u32_e32 v36, vcc, 0, v36, vcc
	global_load_dwordx4 v[35:38], v[35:36], off offset:16
	v_add_co_u32_e32 v39, vcc, s5, v6
	v_addc_co_u32_e32 v40, vcc, 0, v12, vcc
	v_lshlrev_b32_e32 v12, 2, v7
	v_lshlrev_b64 v[6:7], 3, v[12:13]
	v_lshlrev_b32_e32 v12, 2, v5
	v_add_co_u32_e32 v15, vcc, s8, v6
	v_addc_co_u32_e32 v44, vcc, v30, v7, vcc
	v_add_co_u32_e32 v6, vcc, s4, v15
	v_addc_co_u32_e32 v7, vcc, 0, v44, vcc
	global_load_dwordx4 v[55:58], v[6:7], off offset:1880
	v_lshlrev_b64 v[5:6], 3, v[12:13]
	global_load_dwordx4 v[39:42], v[39:40], off offset:16
	v_add_co_u32_e32 v7, vcc, s8, v5
	v_addc_co_u32_e32 v12, vcc, v30, v6, vcc
	v_add_co_u32_e32 v5, vcc, s4, v7
	v_addc_co_u32_e32 v6, vcc, 0, v12, vcc
	;; [unrolled: 2-line block ×3, first 2 shown]
	global_load_dwordx4 v[63:66], v[43:44], off offset:16
	v_add_co_u32_e32 v43, vcc, s5, v7
	v_addc_co_u32_e32 v44, vcc, 0, v12, vcc
	v_lshlrev_b32_e32 v12, 2, v14
	global_load_dwordx4 v[59:62], v[5:6], off offset:1880
	global_load_dwordx4 v[77:80], v[43:44], off offset:16
	v_lshlrev_b64 v[5:6], 3, v[12:13]
	ds_read2_b64 v[49:52], v28 offset0:110 offset1:235
	v_add_co_u32_e32 v14, vcc, s8, v5
	ds_read2_b64 v[67:70], v26 offset0:92 offset1:217
	v_addc_co_u32_e32 v15, vcc, v30, v6, vcc
	v_add_co_u32_e32 v5, vcc, s4, v14
	v_addc_co_u32_e32 v6, vcc, 0, v15, vcc
	global_load_dwordx4 v[81:84], v[5:6], off offset:1880
	v_lshlrev_b32_e32 v12, 2, v4
	s_waitcnt vmcnt(8) lgkmcnt(1)
	v_mul_f32_e32 v5, v1, v50
	v_mul_f32_e32 v45, v1, v49
	v_fma_f32 v46, v0, v49, -v5
	v_fmac_f32_e32 v45, v0, v50
	s_waitcnt lgkmcnt(0)
	v_mul_f32_e32 v0, v3, v68
	v_fma_f32 v50, v2, v67, -v0
	s_waitcnt vmcnt(7)
	v_mul_f32_e32 v0, v52, v32
	v_fma_f32 v49, v51, v31, -v0
	v_lshlrev_b64 v[0:1], 3, v[12:13]
	v_mul_f32_e32 v48, v3, v67
	v_add_co_u32_e32 v12, vcc, s8, v0
	v_addc_co_u32_e32 v43, vcc, v30, v1, vcc
	v_add_co_u32_e32 v0, vcc, s4, v12
	v_addc_co_u32_e32 v1, vcc, 0, v43, vcc
	v_fmac_f32_e32 v48, v2, v68
	global_load_dwordx4 v[0:3], v[0:1], off offset:1880
	v_add_co_u32_e32 v14, vcc, s5, v14
	v_addc_co_u32_e32 v15, vcc, 0, v15, vcc
	global_load_dwordx4 v[85:88], v[14:15], off offset:16
	v_add_co_u32_e32 v14, vcc, s5, v12
	v_addc_co_u32_e32 v15, vcc, 0, v43, vcc
	global_load_dwordx4 v[89:92], v[14:15], off offset:16
	v_mul_f32_e32 v47, v51, v32
	v_mul_f32_e32 v30, v70, v34
	ds_read2_b64 v[4:7], v29 offset0:74 offset1:199
	v_mul_f32_e32 v67, v69, v34
	v_fmac_f32_e32 v47, v52, v31
	v_fma_f32 v68, v69, v33, -v30
	v_fmac_f32_e32 v67, v70, v33
	ds_read2_b64 v[30:33], v27 offset0:56 offset1:181
	s_waitcnt vmcnt(9) lgkmcnt(1)
	v_mul_f32_e32 v34, v36, v5
	v_fma_f32 v70, v35, v4, -v34
	v_mul_f32_e32 v69, v36, v4
	s_waitcnt vmcnt(7)
	v_mul_f32_e32 v71, v6, v40
	s_waitcnt lgkmcnt(0)
	v_mul_f32_e32 v4, v31, v38
	v_fma_f32 v74, v30, v37, -v4
	v_mul_f32_e32 v4, v7, v40
	v_fmac_f32_e32 v69, v35, v5
	v_mul_f32_e32 v72, v30, v38
	v_fma_f32 v73, v6, v39, -v4
	v_fmac_f32_e32 v71, v7, v39
	v_mul_f32_e32 v12, v33, v42
	ds_read2_b64 v[4:7], v25 offset0:104 offset1:229
	v_mul_f32_e32 v75, v32, v42
	v_fmac_f32_e32 v72, v31, v37
	v_fma_f32 v76, v32, v41, -v12
	v_fmac_f32_e32 v75, v33, v41
	ds_read2_b64 v[30:33], v24 offset0:86 offset1:211
	s_waitcnt lgkmcnt(1)
	v_mul_f32_e32 v12, v5, v56
	v_fma_f32 v52, v4, v55, -v12
	v_mul_f32_e32 v51, v4, v56
	s_waitcnt vmcnt(5)
	v_mul_f32_e32 v53, v6, v60
	s_waitcnt lgkmcnt(0)
	v_mul_f32_e32 v4, v31, v58
	v_fma_f32 v56, v30, v57, -v4
	v_mul_f32_e32 v54, v30, v58
	v_mul_f32_e32 v4, v7, v60
	v_fmac_f32_e32 v51, v5, v55
	v_fmac_f32_e32 v54, v31, v57
	v_fma_f32 v55, v6, v59, -v4
	v_fmac_f32_e32 v53, v7, v59
	v_mul_f32_e32 v12, v33, v62
	ds_read2_b64 v[4:7], v20 offset0:68 offset1:193
	v_mul_f32_e32 v57, v32, v62
	v_fma_f32 v58, v32, v61, -v12
	v_fmac_f32_e32 v57, v33, v61
	ds_read2_b64 v[30:33], v23 offset0:50 offset1:175
	s_waitcnt lgkmcnt(1)
	v_mul_f32_e32 v12, v5, v64
	v_fma_f32 v60, v4, v63, -v12
	v_mul_f32_e32 v59, v4, v64
	s_waitcnt vmcnt(4)
	v_mul_f32_e32 v61, v6, v78
	s_waitcnt lgkmcnt(0)
	v_mul_f32_e32 v4, v31, v66
	v_fma_f32 v64, v30, v65, -v4
	v_mul_f32_e32 v62, v30, v66
	v_mul_f32_e32 v4, v7, v78
	v_fmac_f32_e32 v59, v5, v63
	v_fmac_f32_e32 v62, v31, v65
	v_fma_f32 v63, v6, v77, -v4
	v_fmac_f32_e32 v61, v7, v77
	v_mul_f32_e32 v12, v33, v80
	ds_read2_b64 v[4:7], v9 offset0:98 offset1:223
	v_mul_f32_e32 v65, v32, v80
	v_fma_f32 v66, v32, v79, -v12
	v_fmac_f32_e32 v65, v33, v79
	ds_read2_b64 v[31:34], v19 offset0:80 offset1:205
	s_waitcnt vmcnt(3) lgkmcnt(1)
	v_mul_f32_e32 v12, v5, v82
	v_fma_f32 v39, v4, v81, -v12
	v_mul_f32_e32 v37, v4, v82
	v_fmac_f32_e32 v37, v5, v81
	s_waitcnt lgkmcnt(0)
	v_mul_f32_e32 v4, v32, v84
	v_fma_f32 v40, v31, v83, -v4
	v_mul_f32_e32 v38, v31, v84
	s_waitcnt vmcnt(2)
	v_mul_f32_e32 v4, v7, v1
	v_mul_f32_e32 v12, v6, v1
	v_fma_f32 v31, v6, v0, -v4
	v_fmac_f32_e32 v12, v7, v0
	v_mul_f32_e32 v0, v34, v3
	ds_read2_b64 v[4:7], v17 offset0:62 offset1:187
	v_mul_f32_e32 v30, v33, v3
	v_fmac_f32_e32 v38, v32, v83
	v_fma_f32 v32, v33, v2, -v0
	v_fmac_f32_e32 v30, v34, v2
	ds_read2_b64 v[0:3], v18 offset0:44 offset1:169
	s_waitcnt vmcnt(1) lgkmcnt(1)
	v_mul_f32_e32 v14, v5, v86
	v_fma_f32 v43, v4, v85, -v14
	v_mul_f32_e32 v41, v4, v86
	s_waitcnt vmcnt(0)
	v_mul_f32_e32 v33, v6, v90
	s_waitcnt lgkmcnt(0)
	v_mul_f32_e32 v4, v1, v88
	v_fma_f32 v44, v0, v87, -v4
	v_mul_f32_e32 v42, v0, v88
	v_mul_f32_e32 v0, v7, v90
	v_fmac_f32_e32 v41, v5, v85
	v_fma_f32 v35, v6, v89, -v0
	v_fmac_f32_e32 v33, v7, v89
	ds_read2_b64 v[4:7], v16 offset1:125
	v_mul_f32_e32 v0, v3, v92
	v_fmac_f32_e32 v42, v1, v87
	v_fma_f32 v36, v2, v91, -v0
	v_sub_f32_e32 v0, v50, v46
	v_sub_f32_e32 v1, v70, v74
	v_add_f32_e32 v77, v0, v1
	v_add_f32_e32 v0, v46, v74
	s_waitcnt lgkmcnt(0)
	v_fma_f32 v83, -0.5, v0, v4
	v_add_f32_e32 v0, v45, v72
	v_fma_f32 v84, -0.5, v0, v5
	v_sub_f32_e32 v0, v48, v45
	v_sub_f32_e32 v1, v69, v72
	v_add_f32_e32 v78, v0, v1
	v_add_f32_e32 v0, v68, v73
	v_fma_f32 v14, -0.5, v0, v6
	v_add_f32_e32 v0, v49, v76
	v_add_f32_e32 v89, v6, v49
	v_fma_f32 v6, -0.5, v0, v6
	v_sub_f32_e32 v0, v68, v49
	v_sub_f32_e32 v1, v73, v76
	v_add_f32_e32 v90, v0, v1
	v_add_f32_e32 v0, v67, v71
	v_mul_f32_e32 v34, v2, v92
	v_fma_f32 v15, -0.5, v0, v7
	v_add_f32_e32 v0, v47, v75
	v_fmac_f32_e32 v34, v3, v91
	v_add_f32_e32 v91, v7, v47
	v_fmac_f32_e32 v7, -0.5, v0
	v_sub_f32_e32 v93, v48, v69
	v_sub_f32_e32 v95, v50, v70
	;; [unrolled: 1-line block ×6, first 2 shown]
	v_mov_b32_e32 v85, v83
	v_fmac_f32_e32 v83, 0x3f737871, v93
	v_sub_f32_e32 v94, v45, v72
	v_mov_b32_e32 v86, v84
	v_fmac_f32_e32 v84, 0xbf737871, v95
	v_sub_f32_e32 v96, v46, v74
	;; [unrolled: 3-line block ×4, first 2 shown]
	v_add_f32_e32 v92, v0, v1
	v_fmac_f32_e32 v83, 0xbf167918, v94
	v_fmac_f32_e32 v84, 0x3f167918, v96
	;; [unrolled: 1-line block ×8, first 2 shown]
	ds_read2_b64 v[79:82], v22 offset0:122 offset1:247
	ds_read2_b64 v[0:3], v21 offset0:116 offset1:241
	s_waitcnt lgkmcnt(0)
	s_barrier
	ds_write2_b64 v29, v[83:84], v[6:7] offset0:74 offset1:199
	v_add_f32_e32 v6, v50, v70
	v_add_f32_e32 v7, v48, v69
	v_fma_f32 v6, -0.5, v6, v4
	v_fma_f32 v7, -0.5, v7, v5
	v_add_f32_e32 v4, v4, v46
	v_add_f32_e32 v5, v5, v45
	;; [unrolled: 1-line block ×14, first 2 shown]
	ds_write2_b64 v16, v[4:5], v[83:84] offset1:125
	v_sub_f32_e32 v4, v46, v50
	v_sub_f32_e32 v5, v74, v70
	v_add_f32_e32 v16, v4, v5
	v_sub_f32_e32 v4, v45, v48
	v_sub_f32_e32 v5, v72, v69
	v_add_f32_e32 v29, v4, v5
	;; [unrolled: 3-line block ×4, first 2 shown]
	v_mov_b32_e32 v4, v6
	v_mov_b32_e32 v5, v7
	;; [unrolled: 1-line block ×4, first 2 shown]
	v_fmac_f32_e32 v6, 0xbf737871, v94
	v_fmac_f32_e32 v7, 0x3f737871, v96
	v_fmac_f32_e32 v14, 0xbf737871, v98
	v_fmac_f32_e32 v15, 0x3f737871, v100
	v_fmac_f32_e32 v6, 0xbf167918, v93
	v_fmac_f32_e32 v7, 0x3f167918, v95
	v_fmac_f32_e32 v14, 0xbf167918, v97
	v_fmac_f32_e32 v15, 0x3f167918, v99
	v_fmac_f32_e32 v4, 0x3f737871, v94
	v_fmac_f32_e32 v5, 0xbf737871, v96
	v_fmac_f32_e32 v45, 0x3f737871, v98
	v_fmac_f32_e32 v46, 0xbf737871, v100
	v_fmac_f32_e32 v6, 0x3e9e377a, v16
	v_fmac_f32_e32 v7, 0x3e9e377a, v29
	v_fmac_f32_e32 v14, 0x3e9e377a, v48
	v_fmac_f32_e32 v15, 0x3e9e377a, v47
	v_fmac_f32_e32 v4, 0x3f167918, v93
	v_fmac_f32_e32 v5, 0xbf167918, v95
	v_fmac_f32_e32 v45, 0x3f167918, v97
	v_fmac_f32_e32 v46, 0xbf167918, v99
	ds_write2_b64 v27, v[6:7], v[14:15] offset0:56 offset1:181
	v_sub_f32_e32 v6, v54, v51
	v_sub_f32_e32 v7, v59, v62
	v_fmac_f32_e32 v4, 0x3e9e377a, v16
	v_fmac_f32_e32 v5, 0x3e9e377a, v29
	;; [unrolled: 1-line block ×4, first 2 shown]
	v_add_f32_e32 v47, v6, v7
	v_add_f32_e32 v6, v58, v63
	;; [unrolled: 1-line block ×3, first 2 shown]
	ds_write2_b64 v28, v[4:5], v[45:46] offset0:110 offset1:235
	v_fmac_f32_e32 v85, 0xbf737871, v93
	v_fmac_f32_e32 v86, 0x3f737871, v95
	v_fmac_f32_e32 v87, 0xbf737871, v97
	v_fmac_f32_e32 v88, 0x3f737871, v99
	v_sub_f32_e32 v4, v56, v52
	v_sub_f32_e32 v5, v60, v64
	v_add_f32_e32 v45, v81, v55
	v_fma_f32 v6, -0.5, v6, v81
	v_fma_f32 v81, -0.5, v7, v81
	v_sub_f32_e32 v7, v58, v55
	v_sub_f32_e32 v14, v63, v66
	v_fmac_f32_e32 v85, 0x3f167918, v94
	v_fmac_f32_e32 v86, 0xbf167918, v96
	;; [unrolled: 1-line block ×4, first 2 shown]
	v_add_f32_e32 v16, v4, v5
	v_add_f32_e32 v4, v52, v64
	;; [unrolled: 1-line block ×6, first 2 shown]
	v_fmac_f32_e32 v85, 0x3e9e377a, v77
	v_fmac_f32_e32 v86, 0x3e9e377a, v78
	;; [unrolled: 1-line block ×4, first 2 shown]
	v_fma_f32 v4, -0.5, v4, v79
	v_fma_f32 v5, -0.5, v5, v80
	;; [unrolled: 1-line block ×3, first 2 shown]
	v_add_f32_e32 v46, v82, v53
	v_fmac_f32_e32 v82, -0.5, v14
	v_sub_f32_e32 v14, v57, v53
	v_sub_f32_e32 v15, v61, v65
	;; [unrolled: 1-line block ×6, first 2 shown]
	ds_write2_b64 v26, v[85:86], v[87:88] offset0:92 offset1:217
	v_add_f32_e32 v49, v14, v15
	v_mov_b32_e32 v14, v4
	v_fmac_f32_e32 v4, 0x3f737871, v50
	v_sub_f32_e32 v67, v51, v62
	v_mov_b32_e32 v15, v5
	v_fmac_f32_e32 v5, 0xbf737871, v68
	v_sub_f32_e32 v69, v52, v64
	;; [unrolled: 3-line block ×4, first 2 shown]
	v_fmac_f32_e32 v4, 0xbf167918, v67
	v_fmac_f32_e32 v5, 0x3f167918, v69
	;; [unrolled: 1-line block ×8, first 2 shown]
	ds_write2_b64 v20, v[4:5], v[81:82] offset0:68 offset1:193
	v_add_f32_e32 v20, v79, v52
	v_add_f32_e32 v28, v80, v51
	;; [unrolled: 1-line block ×14, first 2 shown]
	ds_write2_b64 v22, v[28:29], v[45:46] offset0:122 offset1:247
	v_sub_f32_e32 v20, v52, v56
	v_sub_f32_e32 v22, v64, v60
	v_add_f32_e32 v20, v20, v22
	v_sub_f32_e32 v22, v51, v54
	v_sub_f32_e32 v28, v62, v59
	v_add_f32_e32 v4, v56, v60
	v_add_f32_e32 v5, v54, v59
	;; [unrolled: 1-line block ×3, first 2 shown]
	v_sub_f32_e32 v28, v55, v58
	v_sub_f32_e32 v29, v66, v63
	v_fma_f32 v4, -0.5, v4, v79
	v_fma_f32 v5, -0.5, v5, v80
	v_add_f32_e32 v51, v28, v29
	v_sub_f32_e32 v28, v53, v57
	v_sub_f32_e32 v29, v65, v61
	v_add_f32_e32 v52, v28, v29
	v_mov_b32_e32 v28, v4
	v_mov_b32_e32 v29, v5
	;; [unrolled: 1-line block ×4, first 2 shown]
	v_fmac_f32_e32 v4, 0xbf737871, v67
	v_fmac_f32_e32 v5, 0x3f737871, v69
	;; [unrolled: 1-line block ×12, first 2 shown]
	ds_write2_b64 v23, v[4:5], v[6:7] offset0:50 offset1:175
	v_add_f32_e32 v4, v0, v39
	v_add_f32_e32 v5, v1, v37
	v_add_f32_e32 v6, v2, v31
	v_add_f32_e32 v7, v3, v12
	v_add_f32_e32 v4, v4, v40
	v_add_f32_e32 v5, v5, v38
	v_add_f32_e32 v6, v6, v32
	v_add_f32_e32 v7, v7, v30
	v_add_f32_e32 v4, v4, v43
	v_add_f32_e32 v5, v5, v41
	v_add_f32_e32 v6, v6, v35
	v_add_f32_e32 v7, v7, v33
	v_add_f32_e32 v4, v4, v44
	v_add_f32_e32 v5, v5, v42
	v_add_f32_e32 v6, v6, v36
	v_add_f32_e32 v7, v7, v34
	ds_write2_b64 v21, v[4:5], v[6:7] offset0:116 offset1:241
	v_sub_f32_e32 v4, v39, v40
	v_sub_f32_e32 v5, v44, v43
	v_fmac_f32_e32 v14, 0xbf737871, v50
	v_fmac_f32_e32 v15, 0x3f737871, v68
	;; [unrolled: 1-line block ×4, first 2 shown]
	v_add_f32_e32 v5, v4, v5
	v_add_f32_e32 v4, v40, v43
	v_fmac_f32_e32 v14, 0x3f167918, v67
	v_fmac_f32_e32 v15, 0xbf167918, v69
	;; [unrolled: 1-line block ×4, first 2 shown]
	v_fma_f32 v4, -0.5, v4, v0
	v_fmac_f32_e32 v14, 0x3e9e377a, v16
	v_fmac_f32_e32 v15, 0x3e9e377a, v47
	;; [unrolled: 1-line block ×4, first 2 shown]
	v_sub_f32_e32 v7, v37, v42
	v_mov_b32_e32 v6, v4
	ds_write2_b64 v24, v[14:15], v[26:27] offset0:86 offset1:211
	v_fmac_f32_e32 v6, 0x3f737871, v7
	v_sub_f32_e32 v15, v38, v41
	v_fmac_f32_e32 v4, 0xbf737871, v7
	v_fmac_f32_e32 v6, 0x3f167918, v15
	;; [unrolled: 1-line block ×5, first 2 shown]
	v_sub_f32_e32 v5, v40, v39
	v_sub_f32_e32 v14, v43, v44
	v_add_f32_e32 v5, v5, v14
	v_add_f32_e32 v14, v39, v44
	v_fma_f32 v0, -0.5, v14, v0
	v_mov_b32_e32 v14, v0
	v_fmac_f32_e32 v14, 0xbf737871, v15
	v_fmac_f32_e32 v0, 0x3f737871, v15
	;; [unrolled: 1-line block ×6, first 2 shown]
	v_add_f32_e32 v5, v38, v41
	v_fmac_f32_e32 v28, 0x3f737871, v67
	v_fma_f32 v5, -0.5, v5, v1
	v_sub_f32_e32 v7, v37, v38
	v_sub_f32_e32 v15, v42, v41
	v_fmac_f32_e32 v28, 0x3f167918, v50
	v_sub_f32_e32 v16, v39, v44
	v_add_f32_e32 v15, v7, v15
	v_mov_b32_e32 v7, v5
	v_fmac_f32_e32 v28, 0x3e9e377a, v20
	v_sub_f32_e32 v20, v40, v43
	v_fmac_f32_e32 v7, 0xbf737871, v16
	v_fmac_f32_e32 v5, 0x3f737871, v16
	v_fmac_f32_e32 v7, 0xbf167918, v20
	v_fmac_f32_e32 v5, 0x3f167918, v20
	v_fmac_f32_e32 v7, 0x3e9e377a, v15
	v_fmac_f32_e32 v5, 0x3e9e377a, v15
	v_add_f32_e32 v15, v37, v42
	v_fma_f32 v1, -0.5, v15, v1
	v_sub_f32_e32 v15, v38, v37
	v_sub_f32_e32 v21, v41, v42
	v_add_f32_e32 v21, v15, v21
	v_mov_b32_e32 v15, v1
	v_fmac_f32_e32 v15, 0x3f737871, v20
	v_fmac_f32_e32 v1, 0xbf737871, v20
	;; [unrolled: 1-line block ×4, first 2 shown]
	v_sub_f32_e32 v16, v31, v32
	v_sub_f32_e32 v20, v36, v35
	v_fmac_f32_e32 v29, 0xbf737871, v69
	v_add_f32_e32 v16, v16, v20
	v_add_f32_e32 v20, v32, v35
	v_fmac_f32_e32 v29, 0xbf167918, v68
	v_fma_f32 v20, -0.5, v20, v2
	v_fmac_f32_e32 v29, 0x3e9e377a, v22
	v_fmac_f32_e32 v15, 0x3e9e377a, v21
	;; [unrolled: 1-line block ×3, first 2 shown]
	v_sub_f32_e32 v21, v12, v34
	v_mov_b32_e32 v22, v20
	v_fmac_f32_e32 v22, 0x3f737871, v21
	v_sub_f32_e32 v23, v30, v33
	v_fmac_f32_e32 v20, 0xbf737871, v21
	v_fmac_f32_e32 v22, 0x3f167918, v23
	;; [unrolled: 1-line block ×5, first 2 shown]
	v_add_f32_e32 v16, v31, v36
	v_fma_f32 v2, -0.5, v16, v2
	v_sub_f32_e32 v16, v32, v31
	v_sub_f32_e32 v24, v35, v36
	v_add_f32_e32 v16, v16, v24
	v_mov_b32_e32 v24, v2
	v_fmac_f32_e32 v45, 0x3f737871, v71
	v_fmac_f32_e32 v46, 0xbf737871, v73
	;; [unrolled: 1-line block ×12, first 2 shown]
	v_add_f32_e32 v16, v30, v33
	ds_write2_b64 v25, v[28:29], v[45:46] offset0:104 offset1:229
	v_fma_f32 v21, -0.5, v16, v3
	v_sub_f32_e32 v23, v12, v30
	v_sub_f32_e32 v25, v34, v33
	;; [unrolled: 1-line block ×3, first 2 shown]
	v_add_f32_e32 v25, v23, v25
	v_mov_b32_e32 v23, v21
	v_sub_f32_e32 v26, v32, v35
	v_fmac_f32_e32 v23, 0xbf737871, v16
	v_fmac_f32_e32 v21, 0x3f737871, v16
	v_fmac_f32_e32 v23, 0xbf167918, v26
	v_fmac_f32_e32 v21, 0x3f167918, v26
	v_fmac_f32_e32 v23, 0x3e9e377a, v25
	v_fmac_f32_e32 v21, 0x3e9e377a, v25
	v_add_f32_e32 v25, v12, v34
	v_fmac_f32_e32 v3, -0.5, v25
	v_sub_f32_e32 v12, v30, v12
	v_sub_f32_e32 v25, v33, v34
	v_add_f32_e32 v12, v12, v25
	v_mov_b32_e32 v25, v3
	v_fmac_f32_e32 v25, 0x3f737871, v26
	v_fmac_f32_e32 v3, 0xbf737871, v26
	;; [unrolled: 1-line block ×6, first 2 shown]
	ds_write2_b64 v9, v[6:7], v[22:23] offset0:98 offset1:223
	ds_write2_b64 v19, v[14:15], v[24:25] offset0:80 offset1:205
	;; [unrolled: 1-line block ×4, first 2 shown]
	s_waitcnt lgkmcnt(0)
	s_barrier
	s_and_saveexec_b64 s[4:5], s[0:1]
	s_cbranch_execz .LBB0_19
; %bb.18:
	v_lshl_add_u32 v6, v8, 3, 0
	v_mov_b32_e32 v9, v13
	ds_read2_b64 v[0:3], v6 offset1:125
	v_mov_b32_e32 v4, s3
	v_add_co_u32_e32 v7, vcc, s2, v10
	v_addc_co_u32_e32 v10, vcc, v4, v11, vcc
	v_lshlrev_b64 v[4:5], 3, v[8:9]
	v_add_u32_e32 v12, 0x7d, v8
	v_add_co_u32_e32 v4, vcc, v7, v4
	v_addc_co_u32_e32 v5, vcc, v10, v5, vcc
	s_waitcnt lgkmcnt(0)
	global_store_dwordx2 v[4:5], v[0:1], off
	v_lshlrev_b64 v[0:1], 3, v[12:13]
	v_add_u32_e32 v12, 0xfa, v8
	v_add_co_u32_e32 v0, vcc, v7, v0
	v_addc_co_u32_e32 v1, vcc, v10, v1, vcc
	global_store_dwordx2 v[0:1], v[2:3], off
	v_add_u32_e32 v0, 0x400, v6
	ds_read2_b64 v[0:3], v0 offset0:122 offset1:247
	v_lshlrev_b64 v[4:5], 3, v[12:13]
	v_add_u32_e32 v12, 0x177, v8
	v_add_co_u32_e32 v4, vcc, v7, v4
	v_addc_co_u32_e32 v5, vcc, v10, v5, vcc
	s_waitcnt lgkmcnt(0)
	global_store_dwordx2 v[4:5], v[0:1], off
	v_lshlrev_b64 v[0:1], 3, v[12:13]
	v_add_u32_e32 v12, 0x1f4, v8
	v_add_co_u32_e32 v0, vcc, v7, v0
	v_addc_co_u32_e32 v1, vcc, v10, v1, vcc
	global_store_dwordx2 v[0:1], v[2:3], off
	v_add_u32_e32 v0, 0xc00, v6
	ds_read2_b64 v[0:3], v0 offset0:116 offset1:241
	v_lshlrev_b64 v[4:5], 3, v[12:13]
	v_add_u32_e32 v12, 0x271, v8
	v_add_co_u32_e32 v4, vcc, v7, v4
	v_addc_co_u32_e32 v5, vcc, v10, v5, vcc
	s_waitcnt lgkmcnt(0)
	global_store_dwordx2 v[4:5], v[0:1], off
	v_lshlrev_b64 v[0:1], 3, v[12:13]
	v_add_u32_e32 v12, 0x2ee, v8
	v_add_co_u32_e32 v0, vcc, v7, v0
	v_addc_co_u32_e32 v1, vcc, v10, v1, vcc
	global_store_dwordx2 v[0:1], v[2:3], off
	v_add_u32_e32 v0, 0x1400, v6
	ds_read2_b64 v[0:3], v0 offset0:110 offset1:235
	v_lshlrev_b64 v[4:5], 3, v[12:13]
	v_add_u32_e32 v12, 0x36b, v8
	v_add_co_u32_e32 v4, vcc, v7, v4
	v_addc_co_u32_e32 v5, vcc, v10, v5, vcc
	s_waitcnt lgkmcnt(0)
	global_store_dwordx2 v[4:5], v[0:1], off
	v_lshlrev_b64 v[0:1], 3, v[12:13]
	v_add_u32_e32 v12, 0x3e8, v8
	v_add_co_u32_e32 v0, vcc, v7, v0
	v_addc_co_u32_e32 v1, vcc, v10, v1, vcc
	global_store_dwordx2 v[0:1], v[2:3], off
	v_add_u32_e32 v0, 0x1c00, v6
	ds_read2_b64 v[0:3], v0 offset0:104 offset1:229
	v_lshlrev_b64 v[4:5], 3, v[12:13]
	v_add_u32_e32 v12, 0x465, v8
	v_add_co_u32_e32 v4, vcc, v7, v4
	v_addc_co_u32_e32 v5, vcc, v10, v5, vcc
	s_waitcnt lgkmcnt(0)
	global_store_dwordx2 v[4:5], v[0:1], off
	v_lshlrev_b64 v[0:1], 3, v[12:13]
	v_add_u32_e32 v12, 0x4e2, v8
	v_add_co_u32_e32 v0, vcc, v7, v0
	v_addc_co_u32_e32 v1, vcc, v10, v1, vcc
	global_store_dwordx2 v[0:1], v[2:3], off
	v_add_u32_e32 v0, 0x2400, v6
	ds_read2_b64 v[0:3], v0 offset0:98 offset1:223
	v_lshlrev_b64 v[4:5], 3, v[12:13]
	v_add_u32_e32 v12, 0x55f, v8
	v_add_co_u32_e32 v4, vcc, v7, v4
	v_addc_co_u32_e32 v5, vcc, v10, v5, vcc
	s_waitcnt lgkmcnt(0)
	global_store_dwordx2 v[4:5], v[0:1], off
	v_lshlrev_b64 v[0:1], 3, v[12:13]
	v_add_u32_e32 v12, 0x5dc, v8
	v_add_co_u32_e32 v0, vcc, v7, v0
	v_addc_co_u32_e32 v1, vcc, v10, v1, vcc
	global_store_dwordx2 v[0:1], v[2:3], off
	v_add_u32_e32 v0, 0x2c00, v6
	ds_read2_b64 v[0:3], v0 offset0:92 offset1:217
	v_lshlrev_b64 v[4:5], 3, v[12:13]
	v_add_u32_e32 v12, 0x659, v8
	v_add_co_u32_e32 v4, vcc, v7, v4
	v_addc_co_u32_e32 v5, vcc, v10, v5, vcc
	s_waitcnt lgkmcnt(0)
	global_store_dwordx2 v[4:5], v[0:1], off
	v_lshlrev_b64 v[0:1], 3, v[12:13]
	v_add_u32_e32 v12, 0x6d6, v8
	v_add_co_u32_e32 v0, vcc, v7, v0
	v_addc_co_u32_e32 v1, vcc, v10, v1, vcc
	global_store_dwordx2 v[0:1], v[2:3], off
	v_add_u32_e32 v0, 0x3400, v6
	ds_read2_b64 v[0:3], v0 offset0:86 offset1:211
	v_lshlrev_b64 v[4:5], 3, v[12:13]
	v_add_u32_e32 v12, 0x753, v8
	v_add_co_u32_e32 v4, vcc, v7, v4
	v_addc_co_u32_e32 v5, vcc, v10, v5, vcc
	s_waitcnt lgkmcnt(0)
	global_store_dwordx2 v[4:5], v[0:1], off
	v_lshlrev_b64 v[0:1], 3, v[12:13]
	v_add_u32_e32 v12, 0x7d0, v8
	v_add_co_u32_e32 v0, vcc, v7, v0
	v_addc_co_u32_e32 v1, vcc, v10, v1, vcc
	global_store_dwordx2 v[0:1], v[2:3], off
	v_add_u32_e32 v0, 0x3c00, v6
	ds_read2_b64 v[0:3], v0 offset0:80 offset1:205
	v_lshlrev_b64 v[4:5], 3, v[12:13]
	v_add_u32_e32 v12, 0x84d, v8
	v_add_co_u32_e32 v4, vcc, v7, v4
	v_addc_co_u32_e32 v5, vcc, v10, v5, vcc
	s_waitcnt lgkmcnt(0)
	global_store_dwordx2 v[4:5], v[0:1], off
	v_lshlrev_b64 v[0:1], 3, v[12:13]
	v_add_u32_e32 v12, 0x8ca, v8
	v_add_co_u32_e32 v0, vcc, v7, v0
	v_addc_co_u32_e32 v1, vcc, v10, v1, vcc
	global_store_dwordx2 v[0:1], v[2:3], off
	v_add_u32_e32 v0, 0x4400, v6
	ds_read2_b64 v[0:3], v0 offset0:74 offset1:199
	v_lshlrev_b64 v[4:5], 3, v[12:13]
	v_add_u32_e32 v12, 0x947, v8
	v_add_co_u32_e32 v4, vcc, v7, v4
	v_addc_co_u32_e32 v5, vcc, v10, v5, vcc
	s_waitcnt lgkmcnt(0)
	global_store_dwordx2 v[4:5], v[0:1], off
	v_lshlrev_b64 v[0:1], 3, v[12:13]
	v_add_u32_e32 v12, 0x9c4, v8
	v_add_co_u32_e32 v0, vcc, v7, v0
	v_addc_co_u32_e32 v1, vcc, v10, v1, vcc
	global_store_dwordx2 v[0:1], v[2:3], off
	v_add_u32_e32 v0, 0x4c00, v6
	ds_read2_b64 v[0:3], v0 offset0:68 offset1:193
	v_lshlrev_b64 v[4:5], 3, v[12:13]
	v_add_u32_e32 v12, 0xa41, v8
	v_add_co_u32_e32 v4, vcc, v7, v4
	v_addc_co_u32_e32 v5, vcc, v10, v5, vcc
	s_waitcnt lgkmcnt(0)
	global_store_dwordx2 v[4:5], v[0:1], off
	v_lshlrev_b64 v[0:1], 3, v[12:13]
	v_add_u32_e32 v12, 0xabe, v8
	v_add_co_u32_e32 v0, vcc, v7, v0
	v_addc_co_u32_e32 v1, vcc, v10, v1, vcc
	global_store_dwordx2 v[0:1], v[2:3], off
	v_add_u32_e32 v0, 0x5400, v6
	ds_read2_b64 v[0:3], v0 offset0:62 offset1:187
	v_lshlrev_b64 v[4:5], 3, v[12:13]
	v_add_u32_e32 v12, 0xb3b, v8
	v_add_co_u32_e32 v4, vcc, v7, v4
	v_addc_co_u32_e32 v5, vcc, v10, v5, vcc
	s_waitcnt lgkmcnt(0)
	global_store_dwordx2 v[4:5], v[0:1], off
	v_lshlrev_b64 v[0:1], 3, v[12:13]
	v_add_u32_e32 v12, 0xbb8, v8
	v_add_co_u32_e32 v0, vcc, v7, v0
	v_addc_co_u32_e32 v1, vcc, v10, v1, vcc
	global_store_dwordx2 v[0:1], v[2:3], off
	v_add_u32_e32 v0, 0x5c00, v6
	ds_read2_b64 v[0:3], v0 offset0:56 offset1:181
	v_lshlrev_b64 v[4:5], 3, v[12:13]
	v_add_u32_e32 v12, 0xc35, v8
	v_add_co_u32_e32 v4, vcc, v7, v4
	v_addc_co_u32_e32 v5, vcc, v10, v5, vcc
	s_waitcnt lgkmcnt(0)
	global_store_dwordx2 v[4:5], v[0:1], off
	v_lshlrev_b64 v[0:1], 3, v[12:13]
	v_add_u32_e32 v12, 0xcb2, v8
	v_add_co_u32_e32 v0, vcc, v7, v0
	v_addc_co_u32_e32 v1, vcc, v10, v1, vcc
	global_store_dwordx2 v[0:1], v[2:3], off
	v_add_u32_e32 v0, 0x6400, v6
	ds_read2_b64 v[0:3], v0 offset0:50 offset1:175
	v_lshlrev_b64 v[4:5], 3, v[12:13]
	v_add_u32_e32 v12, 0xd2f, v8
	v_add_co_u32_e32 v4, vcc, v7, v4
	v_addc_co_u32_e32 v5, vcc, v10, v5, vcc
	s_waitcnt lgkmcnt(0)
	global_store_dwordx2 v[4:5], v[0:1], off
	v_lshlrev_b64 v[0:1], 3, v[12:13]
	v_add_u32_e32 v12, 0xdac, v8
	v_add_co_u32_e32 v0, vcc, v7, v0
	v_addc_co_u32_e32 v1, vcc, v10, v1, vcc
	global_store_dwordx2 v[0:1], v[2:3], off
	v_add_u32_e32 v0, 0x6c00, v6
	ds_read2_b64 v[0:3], v0 offset0:44 offset1:169
	v_lshlrev_b64 v[4:5], 3, v[12:13]
	v_add_u32_e32 v12, 0xe29, v8
	v_add_co_u32_e32 v4, vcc, v7, v4
	v_addc_co_u32_e32 v5, vcc, v10, v5, vcc
	s_waitcnt lgkmcnt(0)
	global_store_dwordx2 v[4:5], v[0:1], off
	v_lshlrev_b64 v[0:1], 3, v[12:13]
	v_add_co_u32_e32 v0, vcc, v7, v0
	v_addc_co_u32_e32 v1, vcc, v10, v1, vcc
	global_store_dwordx2 v[0:1], v[2:3], off
.LBB0_19:
	s_endpgm
	.section	.rodata,"a",@progbits
	.p2align	6, 0x0
	.amdhsa_kernel fft_rtc_fwd_len3750_factors_3_5_5_10_5_wgs_125_tpt_125_halfLds_sp_ip_CI_unitstride_sbrr_C2R_dirReg
		.amdhsa_group_segment_fixed_size 0
		.amdhsa_private_segment_fixed_size 0
		.amdhsa_kernarg_size 88
		.amdhsa_user_sgpr_count 6
		.amdhsa_user_sgpr_private_segment_buffer 1
		.amdhsa_user_sgpr_dispatch_ptr 0
		.amdhsa_user_sgpr_queue_ptr 0
		.amdhsa_user_sgpr_kernarg_segment_ptr 1
		.amdhsa_user_sgpr_dispatch_id 0
		.amdhsa_user_sgpr_flat_scratch_init 0
		.amdhsa_user_sgpr_private_segment_size 0
		.amdhsa_uses_dynamic_stack 0
		.amdhsa_system_sgpr_private_segment_wavefront_offset 0
		.amdhsa_system_sgpr_workgroup_id_x 1
		.amdhsa_system_sgpr_workgroup_id_y 0
		.amdhsa_system_sgpr_workgroup_id_z 0
		.amdhsa_system_sgpr_workgroup_info 0
		.amdhsa_system_vgpr_workitem_id 0
		.amdhsa_next_free_vgpr 120
		.amdhsa_next_free_sgpr 22
		.amdhsa_reserve_vcc 1
		.amdhsa_reserve_flat_scratch 0
		.amdhsa_float_round_mode_32 0
		.amdhsa_float_round_mode_16_64 0
		.amdhsa_float_denorm_mode_32 3
		.amdhsa_float_denorm_mode_16_64 3
		.amdhsa_dx10_clamp 1
		.amdhsa_ieee_mode 1
		.amdhsa_fp16_overflow 0
		.amdhsa_exception_fp_ieee_invalid_op 0
		.amdhsa_exception_fp_denorm_src 0
		.amdhsa_exception_fp_ieee_div_zero 0
		.amdhsa_exception_fp_ieee_overflow 0
		.amdhsa_exception_fp_ieee_underflow 0
		.amdhsa_exception_fp_ieee_inexact 0
		.amdhsa_exception_int_div_zero 0
	.end_amdhsa_kernel
	.text
.Lfunc_end0:
	.size	fft_rtc_fwd_len3750_factors_3_5_5_10_5_wgs_125_tpt_125_halfLds_sp_ip_CI_unitstride_sbrr_C2R_dirReg, .Lfunc_end0-fft_rtc_fwd_len3750_factors_3_5_5_10_5_wgs_125_tpt_125_halfLds_sp_ip_CI_unitstride_sbrr_C2R_dirReg
                                        ; -- End function
	.section	.AMDGPU.csdata,"",@progbits
; Kernel info:
; codeLenInByte = 20496
; NumSgprs: 26
; NumVgprs: 120
; ScratchSize: 0
; MemoryBound: 0
; FloatMode: 240
; IeeeMode: 1
; LDSByteSize: 0 bytes/workgroup (compile time only)
; SGPRBlocks: 3
; VGPRBlocks: 29
; NumSGPRsForWavesPerEU: 26
; NumVGPRsForWavesPerEU: 120
; Occupancy: 2
; WaveLimiterHint : 1
; COMPUTE_PGM_RSRC2:SCRATCH_EN: 0
; COMPUTE_PGM_RSRC2:USER_SGPR: 6
; COMPUTE_PGM_RSRC2:TRAP_HANDLER: 0
; COMPUTE_PGM_RSRC2:TGID_X_EN: 1
; COMPUTE_PGM_RSRC2:TGID_Y_EN: 0
; COMPUTE_PGM_RSRC2:TGID_Z_EN: 0
; COMPUTE_PGM_RSRC2:TIDIG_COMP_CNT: 0
	.type	__hip_cuid_b8ef277783080fd1,@object ; @__hip_cuid_b8ef277783080fd1
	.section	.bss,"aw",@nobits
	.globl	__hip_cuid_b8ef277783080fd1
__hip_cuid_b8ef277783080fd1:
	.byte	0                               ; 0x0
	.size	__hip_cuid_b8ef277783080fd1, 1

	.ident	"AMD clang version 19.0.0git (https://github.com/RadeonOpenCompute/llvm-project roc-6.4.0 25133 c7fe45cf4b819c5991fe208aaa96edf142730f1d)"
	.section	".note.GNU-stack","",@progbits
	.addrsig
	.addrsig_sym __hip_cuid_b8ef277783080fd1
	.amdgpu_metadata
---
amdhsa.kernels:
  - .args:
      - .actual_access:  read_only
        .address_space:  global
        .offset:         0
        .size:           8
        .value_kind:     global_buffer
      - .offset:         8
        .size:           8
        .value_kind:     by_value
      - .actual_access:  read_only
        .address_space:  global
        .offset:         16
        .size:           8
        .value_kind:     global_buffer
      - .actual_access:  read_only
        .address_space:  global
        .offset:         24
        .size:           8
        .value_kind:     global_buffer
      - .offset:         32
        .size:           8
        .value_kind:     by_value
      - .actual_access:  read_only
        .address_space:  global
        .offset:         40
        .size:           8
        .value_kind:     global_buffer
      - .actual_access:  read_only
        .address_space:  global
        .offset:         48
        .size:           8
        .value_kind:     global_buffer
      - .offset:         56
        .size:           4
        .value_kind:     by_value
      - .actual_access:  read_only
        .address_space:  global
        .offset:         64
        .size:           8
        .value_kind:     global_buffer
      - .actual_access:  read_only
        .address_space:  global
        .offset:         72
        .size:           8
        .value_kind:     global_buffer
      - .address_space:  global
        .offset:         80
        .size:           8
        .value_kind:     global_buffer
    .group_segment_fixed_size: 0
    .kernarg_segment_align: 8
    .kernarg_segment_size: 88
    .language:       OpenCL C
    .language_version:
      - 2
      - 0
    .max_flat_workgroup_size: 125
    .name:           fft_rtc_fwd_len3750_factors_3_5_5_10_5_wgs_125_tpt_125_halfLds_sp_ip_CI_unitstride_sbrr_C2R_dirReg
    .private_segment_fixed_size: 0
    .sgpr_count:     26
    .sgpr_spill_count: 0
    .symbol:         fft_rtc_fwd_len3750_factors_3_5_5_10_5_wgs_125_tpt_125_halfLds_sp_ip_CI_unitstride_sbrr_C2R_dirReg.kd
    .uniform_work_group_size: 1
    .uses_dynamic_stack: false
    .vgpr_count:     120
    .vgpr_spill_count: 0
    .wavefront_size: 64
amdhsa.target:   amdgcn-amd-amdhsa--gfx906
amdhsa.version:
  - 1
  - 2
...

	.end_amdgpu_metadata
